;; amdgpu-corpus repo=ROCm/rocSOLVER kind=compiled arch=gfx90a opt=O3
	.text
	.amdgcn_target "amdgcn-amd-amdhsa--gfx90a"
	.amdhsa_code_object_version 6
	.section	.text._ZN9rocsolver6v33100L19stedc_update_splitsEiiiPi,"axG",@progbits,_ZN9rocsolver6v33100L19stedc_update_splitsEiiiPi,comdat
	.globl	_ZN9rocsolver6v33100L19stedc_update_splitsEiiiPi ; -- Begin function _ZN9rocsolver6v33100L19stedc_update_splitsEiiiPi
	.p2align	8
	.type	_ZN9rocsolver6v33100L19stedc_update_splitsEiiiPi,@function
_ZN9rocsolver6v33100L19stedc_update_splitsEiiiPi: ; @_ZN9rocsolver6v33100L19stedc_update_splitsEiiiPi
; %bb.0:
	s_load_dwordx4 s[8:11], s[4:5], 0x0
	s_load_dwordx2 s[0:1], s[4:5], 0x10
	s_waitcnt lgkmcnt(0)
	s_mul_i32 s2, s7, s10
	s_mul_i32 s2, s2, 13
	s_ashr_i32 s3, s2, 31
	s_lshl_b64 s[12:13], s[2:3], 2
	s_add_u32 s18, s0, s12
	s_addc_u32 s20, s1, s13
	s_lshl_b32 s2, s10, 2
	s_ashr_i32 s3, s2, 31
	s_lshl_b64 s[14:15], s[2:3], 2
	s_add_u32 s16, s18, s14
	s_addc_u32 s17, s20, s15
	s_ashr_i32 s11, s10, 31
	s_mul_i32 s3, s10, -12
	s_mul_hi_i32 s2, s10, -12
	s_add_u32 s19, s16, s3
	s_addc_u32 s21, s17, s2
	s_lshl_b32 s22, 1, s8
	s_cmp_eq_u32 s9, 0
	s_cselect_b64 s[2:3], -1, 0
	v_cmp_gt_i32_e32 vcc, s22, v0
	s_and_b64 s[6:7], s[2:3], vcc
	s_and_saveexec_b64 s[2:3], s[6:7]
	s_cbranch_execz .LBB0_11
; %bb.1:
	s_load_dword s23, s[4:5], 0x24
	s_mov_b64 s[6:7], 0
	v_mov_b32_e32 v1, s20
	v_mov_b32_e32 v2, v0
	s_waitcnt lgkmcnt(0)
	s_and_b32 s23, s23, 0xffff
	s_add_u32 s12, s12, s14
	s_addc_u32 s13, s13, s15
	s_add_u32 s24, s0, s12
	s_addc_u32 s25, s1, s13
	s_branch .LBB0_3
.LBB0_2:                                ;   in Loop: Header=BB0_3 Depth=1
	s_or_b64 exec, exec, s[12:13]
	v_add_u32_e32 v2, s23, v2
	v_cmp_le_i32_e32 vcc, s22, v2
	s_or_b64 s[6:7], vcc, s[6:7]
	s_andn2_b64 exec, exec, s[6:7]
	s_cbranch_execz .LBB0_11
.LBB0_3:                                ; =>This Loop Header: Depth=1
                                        ;     Child Loop BB0_6 Depth 2
                                        ;     Child Loop BB0_10 Depth 2
	v_ashrrev_i32_e32 v3, 31, v2
	v_lshlrev_b64 v[4:5], 2, v[2:3]
	v_add_co_u32_e32 v6, vcc, s18, v4
	s_waitcnt vmcnt(0)
	v_addc_co_u32_e32 v7, vcc, v1, v5, vcc
	global_load_dword v6, v[6:7], off
	s_waitcnt vmcnt(0)
	v_cmp_lt_i32_e32 vcc, 0, v6
	s_and_saveexec_b64 s[12:13], vcc
	s_cbranch_execz .LBB0_2
; %bb.4:                                ;   in Loop: Header=BB0_3 Depth=1
	v_mov_b32_e32 v3, s21
	v_add_co_u32_e32 v4, vcc, s19, v4
	v_addc_co_u32_e32 v5, vcc, v3, v5, vcc
	global_load_dword v7, v[4:5], off
	v_cmp_ne_u32_e32 vcc, 1, v6
	s_mov_b64 s[14:15], -1
	v_mov_b32_e32 v8, 0
	s_and_saveexec_b64 s[0:1], vcc
	s_cbranch_execz .LBB0_8
; %bb.5:                                ;   in Loop: Header=BB0_3 Depth=1
	v_and_b32_e32 v8, 0x7ffffffe, v6
	v_mov_b32_e32 v3, v2
	s_mov_b64 s[14:15], 0
	v_mov_b32_e32 v9, v8
	s_waitcnt vmcnt(0)
	v_mov_b32_e32 v4, v7
.LBB0_6:                                ;   Parent Loop BB0_3 Depth=1
                                        ; =>  This Inner Loop Header: Depth=2
	v_ashrrev_i32_e32 v5, 31, v4
	v_lshlrev_b64 v[10:11], 2, v[4:5]
	v_mov_b32_e32 v5, s17
	v_add_co_u32_e32 v10, vcc, s16, v10
	v_addc_co_u32_e32 v11, vcc, v5, v11, vcc
	v_add_u32_e32 v9, -2, v9
	v_cmp_eq_u32_e32 vcc, 0, v9
	s_or_b64 s[14:15], vcc, s[14:15]
	v_add_u32_e32 v4, 2, v4
	global_store_dwordx2 v[10:11], v[2:3], off
	s_andn2_b64 exec, exec, s[14:15]
	s_cbranch_execnz .LBB0_6
; %bb.7:                                ;   in Loop: Header=BB0_3 Depth=1
	s_or_b64 exec, exec, s[14:15]
	v_cmp_ne_u32_e32 vcc, v6, v8
	s_orn2_b64 s[14:15], vcc, exec
.LBB0_8:                                ;   in Loop: Header=BB0_3 Depth=1
	s_or_b64 exec, exec, s[0:1]
	s_and_b64 exec, exec, s[14:15]
	s_cbranch_execz .LBB0_2
; %bb.9:                                ;   in Loop: Header=BB0_3 Depth=1
	s_waitcnt vmcnt(0)
	v_ashrrev_i32_e32 v5, 31, v7
	v_add_co_u32_e32 v4, vcc, v7, v8
	v_addc_co_u32_e32 v5, vcc, 0, v5, vcc
	v_lshlrev_b64 v[4:5], 2, v[4:5]
	v_sub_u32_e32 v3, v6, v8
	v_mov_b32_e32 v6, s25
	v_add_co_u32_e32 v4, vcc, s24, v4
	v_addc_co_u32_e32 v5, vcc, v6, v5, vcc
	s_mov_b64 s[14:15], 0
.LBB0_10:                               ;   Parent Loop BB0_3 Depth=1
                                        ; =>  This Inner Loop Header: Depth=2
	v_add_u32_e32 v3, -1, v3
	global_store_dword v[4:5], v2, off
	v_add_co_u32_e32 v4, vcc, 4, v4
	v_cmp_eq_u32_e64 s[0:1], 0, v3
	s_or_b64 s[14:15], s[0:1], s[14:15]
	v_addc_co_u32_e32 v5, vcc, 0, v5, vcc
	s_andn2_b64 exec, exec, s[14:15]
	s_cbranch_execnz .LBB0_10
	s_branch .LBB0_2
.LBB0_11:
	s_or_b64 exec, exec, s[2:3]
	s_lshl_b64 s[0:1], s[10:11], 4
	s_add_u32 s12, s19, s0
	s_addc_u32 s13, s21, s1
	s_lshl_b64 s[0:1], s[10:11], 2
	s_add_u32 s11, s12, s0
	s_addc_u32 s14, s13, s1
	s_add_u32 s23, s0, s19
	s_addc_u32 s24, s1, s21
	;; [unrolled: 2-line block ×3, first 2 shown]
	s_not_b32 s2, s9
	s_add_i32 s8, s2, s8
	s_lshl_b32 s9, 2, s8
	v_cmp_gt_i32_e32 vcc, s9, v0
	s_and_saveexec_b64 s[2:3], vcc
	s_cbranch_execz .LBB0_14
; %bb.12:
	s_load_dword s25, s[4:5], 0x24
	s_mov_b64 s[6:7], 0
	v_mov_b32_e32 v1, s20
	v_mov_b32_e32 v4, s24
	;; [unrolled: 1-line block ×3, first 2 shown]
	s_waitcnt lgkmcnt(0)
	s_and_b32 s25, s25, 0xffff
	v_mov_b32_e32 v6, s22
	v_mov_b32_e32 v2, v0
.LBB0_13:                               ; =>This Inner Loop Header: Depth=1
	v_ashrrev_i32_e32 v3, 31, v2
	v_lshlrev_b64 v[8:9], 2, v[2:3]
	v_add_co_u32_e32 v10, vcc, s18, v8
	v_addc_co_u32_e32 v11, vcc, v1, v9, vcc
	global_load_dword v3, v[10:11], off
	v_add_co_u32_e32 v10, vcc, s23, v8
	v_addc_co_u32_e32 v11, vcc, v4, v9, vcc
	v_add_u32_e32 v2, s25, v2
	s_waitcnt vmcnt(0)
	global_store_dword v[10:11], v3, off
	v_add_co_u32_e32 v10, vcc, s19, v8
	v_addc_co_u32_e32 v11, vcc, v5, v9, vcc
	global_load_dword v3, v[10:11], off
	v_add_co_u32_e32 v8, vcc, s15, v8
	v_addc_co_u32_e32 v9, vcc, v6, v9, vcc
	v_cmp_le_i32_e32 vcc, s9, v2
	s_or_b64 s[6:7], vcc, s[6:7]
	s_waitcnt vmcnt(0)
	global_store_dword v[8:9], v3, off
	s_andn2_b64 exec, exec, s[6:7]
	s_cbranch_execnz .LBB0_13
.LBB0_14:
	s_or_b64 exec, exec, s[2:3]
	s_lshl_b32 s8, 1, s8
	v_cmp_gt_i32_e32 vcc, s8, v0
	s_barrier
	s_and_saveexec_b64 s[2:3], vcc
	s_cbranch_execz .LBB0_17
; %bb.15:
	s_load_dword s9, s[4:5], 0x24
	v_lshlrev_b32_e32 v2, 1, v0
	s_mov_b64 s[6:7], 0
	v_mov_b32_e32 v1, s24
	v_mov_b32_e32 v6, s22
	s_waitcnt lgkmcnt(0)
	s_and_b32 s9, s9, 0xffff
	s_lshl_b32 s24, s9, 1
	s_waitcnt vmcnt(0)
	v_mov_b32_e32 v7, s20
	v_mov_b32_e32 v8, s21
	;; [unrolled: 1-line block ×3, first 2 shown]
.LBB0_16:                               ; =>This Inner Loop Header: Depth=1
	v_ashrrev_i32_e32 v3, 31, v2
	v_lshlrev_b64 v[10:11], 2, v[2:3]
	v_add_co_u32_e32 v12, vcc, s23, v10
	v_addc_co_u32_e32 v13, vcc, v1, v11, vcc
	global_load_dwordx2 v[12:13], v[12:13], off
	v_add_co_u32_e32 v10, vcc, s15, v10
	v_addc_co_u32_e32 v11, vcc, v6, v11, vcc
	global_load_dword v3, v[10:11], off
	v_ashrrev_i32_e32 v5, 31, v4
	v_lshlrev_b64 v[10:11], 2, v[4:5]
	v_add_co_u32_e32 v14, vcc, s18, v10
	v_addc_co_u32_e32 v15, vcc, v7, v11, vcc
	v_add_co_u32_e32 v10, vcc, s19, v10
	v_add_u32_e32 v4, s9, v4
	v_addc_co_u32_e32 v11, vcc, v8, v11, vcc
	v_cmp_le_i32_e32 vcc, s8, v4
	s_or_b64 s[6:7], vcc, s[6:7]
	v_add_u32_e32 v2, s24, v2
	s_waitcnt vmcnt(1)
	v_add_u32_e32 v5, v13, v12
	global_store_dword v[14:15], v5, off
	s_waitcnt vmcnt(1)
	global_store_dword v[10:11], v3, off
	s_andn2_b64 exec, exec, s[6:7]
	s_cbranch_execnz .LBB0_16
.LBB0_17:
	s_or_b64 exec, exec, s[2:3]
	v_cmp_gt_i32_e32 vcc, s10, v0
	s_barrier
	s_and_saveexec_b64 s[2:3], vcc
	s_cbranch_execz .LBB0_20
; %bb.18:
	s_mul_i32 s7, s10, 28
	s_load_dword s23, s[4:5], 0x24
	s_mul_hi_i32 s6, s10, 28
	s_add_u32 s8, s15, s7
	s_addc_u32 s22, s22, s6
	s_sub_u32 s9, s8, s0
	s_subb_u32 s0, s22, s1
	s_waitcnt lgkmcnt(0)
	s_and_b32 s15, s23, 0xffff
	s_mov_b64 s[6:7], 0
	v_mov_b32_e32 v1, s17
	v_mov_b32_e32 v4, s20
	;; [unrolled: 1-line block ×4, first 2 shown]
	s_waitcnt vmcnt(0)
	v_mov_b32_e32 v7, s14
	v_mov_b32_e32 v8, s22
	;; [unrolled: 1-line block ×5, first 2 shown]
.LBB0_19:                               ; =>This Inner Loop Header: Depth=1
	v_ashrrev_i32_e32 v3, 31, v2
	v_lshlrev_b64 v[12:13], 2, v[2:3]
	v_add_co_u32_e64 v14, s[0:1], s16, v12
	v_addc_co_u32_e64 v15, s[0:1], v1, v13, s[0:1]
	global_load_dword v3, v[14:15], off
	v_add_u32_e32 v2, s15, v2
	s_waitcnt vmcnt(0)
	v_lshrrev_b32_e32 v11, 31, v3
	v_add_u32_e32 v3, v3, v11
	v_ashrrev_i32_e32 v14, 1, v3
	v_ashrrev_i32_e32 v15, 31, v14
	v_lshlrev_b64 v[14:15], 2, v[14:15]
	v_add_co_u32_e64 v16, s[0:1], s18, v14
	v_addc_co_u32_e64 v17, s[0:1], v4, v15, s[0:1]
	global_load_dword v3, v[16:17], off
	v_add_co_u32_e64 v16, s[0:1], s12, v12
	v_addc_co_u32_e64 v17, s[0:1], v5, v13, s[0:1]
	v_add_co_u32_e64 v14, s[0:1], s19, v14
	v_addc_co_u32_e64 v15, s[0:1], v6, v15, s[0:1]
	s_waitcnt vmcnt(0)
	global_store_dword v[16:17], v3, off
	global_load_dword v3, v[14:15], off
	v_add_co_u32_e64 v14, s[0:1], s11, v12
	v_addc_co_u32_e64 v15, s[0:1], v7, v13, s[0:1]
	v_add_co_u32_e64 v16, s[0:1], s8, v12
	v_addc_co_u32_e64 v17, s[0:1], v8, v13, s[0:1]
	;; [unrolled: 2-line block ×3, first 2 shown]
	v_cmp_le_i32_e64 s[0:1], s10, v2
	s_or_b64 s[6:7], s[0:1], s[6:7]
	s_waitcnt vmcnt(0)
	global_store_dword v[14:15], v3, off
	global_store_dword v[16:17], v9, off
	global_store_dword v[12:13], v9, off
	s_andn2_b64 exec, exec, s[6:7]
	s_cbranch_execnz .LBB0_19
.LBB0_20:
	s_or_b64 exec, exec, s[2:3]
	s_barrier
	s_and_saveexec_b64 s[0:1], vcc
	s_cbranch_execz .LBB0_23
; %bb.21:
	s_load_dword s2, s[4:5], 0x24
	s_mov_b64 s[0:1], 0
	v_mov_b32_e32 v2, s17
	s_waitcnt lgkmcnt(0)
	s_and_b32 s2, s2, 0xffff
.LBB0_22:                               ; =>This Inner Loop Header: Depth=1
	v_ashrrev_i32_e32 v1, 31, v0
	v_lshlrev_b64 v[4:5], 2, v[0:1]
	v_add_co_u32_e32 v4, vcc, s16, v4
	v_addc_co_u32_e32 v5, vcc, v2, v5, vcc
	global_load_dword v1, v[4:5], off
	v_add_u32_e32 v0, s2, v0
	v_cmp_le_i32_e32 vcc, s10, v0
	s_or_b64 s[0:1], vcc, s[0:1]
	s_waitcnt vmcnt(0)
	v_lshrrev_b32_e32 v3, 31, v1
	v_add_u32_e32 v1, v1, v3
	v_ashrrev_i32_e32 v1, 1, v1
	global_store_dword v[4:5], v1, off
	s_andn2_b64 exec, exec, s[0:1]
	s_cbranch_execnz .LBB0_22
.LBB0_23:
	s_endpgm
	.section	.rodata,"a",@progbits
	.p2align	6, 0x0
	.amdhsa_kernel _ZN9rocsolver6v33100L19stedc_update_splitsEiiiPi
		.amdhsa_group_segment_fixed_size 0
		.amdhsa_private_segment_fixed_size 0
		.amdhsa_kernarg_size 280
		.amdhsa_user_sgpr_count 6
		.amdhsa_user_sgpr_private_segment_buffer 1
		.amdhsa_user_sgpr_dispatch_ptr 0
		.amdhsa_user_sgpr_queue_ptr 0
		.amdhsa_user_sgpr_kernarg_segment_ptr 1
		.amdhsa_user_sgpr_dispatch_id 0
		.amdhsa_user_sgpr_flat_scratch_init 0
		.amdhsa_user_sgpr_kernarg_preload_length 0
		.amdhsa_user_sgpr_kernarg_preload_offset 0
		.amdhsa_user_sgpr_private_segment_size 0
		.amdhsa_uses_dynamic_stack 0
		.amdhsa_system_sgpr_private_segment_wavefront_offset 0
		.amdhsa_system_sgpr_workgroup_id_x 1
		.amdhsa_system_sgpr_workgroup_id_y 1
		.amdhsa_system_sgpr_workgroup_id_z 0
		.amdhsa_system_sgpr_workgroup_info 0
		.amdhsa_system_vgpr_workitem_id 0
		.amdhsa_next_free_vgpr 18
		.amdhsa_next_free_sgpr 26
		.amdhsa_accum_offset 20
		.amdhsa_reserve_vcc 1
		.amdhsa_reserve_flat_scratch 0
		.amdhsa_float_round_mode_32 0
		.amdhsa_float_round_mode_16_64 0
		.amdhsa_float_denorm_mode_32 3
		.amdhsa_float_denorm_mode_16_64 3
		.amdhsa_dx10_clamp 1
		.amdhsa_ieee_mode 1
		.amdhsa_fp16_overflow 0
		.amdhsa_tg_split 0
		.amdhsa_exception_fp_ieee_invalid_op 0
		.amdhsa_exception_fp_denorm_src 0
		.amdhsa_exception_fp_ieee_div_zero 0
		.amdhsa_exception_fp_ieee_overflow 0
		.amdhsa_exception_fp_ieee_underflow 0
		.amdhsa_exception_fp_ieee_inexact 0
		.amdhsa_exception_int_div_zero 0
	.end_amdhsa_kernel
	.section	.text._ZN9rocsolver6v33100L19stedc_update_splitsEiiiPi,"axG",@progbits,_ZN9rocsolver6v33100L19stedc_update_splitsEiiiPi,comdat
.Lfunc_end0:
	.size	_ZN9rocsolver6v33100L19stedc_update_splitsEiiiPi, .Lfunc_end0-_ZN9rocsolver6v33100L19stedc_update_splitsEiiiPi
                                        ; -- End function
	.section	.AMDGPU.csdata,"",@progbits
; Kernel info:
; codeLenInByte = 1360
; NumSgprs: 30
; NumVgprs: 18
; NumAgprs: 0
; TotalNumVgprs: 18
; ScratchSize: 0
; MemoryBound: 0
; FloatMode: 240
; IeeeMode: 1
; LDSByteSize: 0 bytes/workgroup (compile time only)
; SGPRBlocks: 3
; VGPRBlocks: 2
; NumSGPRsForWavesPerEU: 30
; NumVGPRsForWavesPerEU: 18
; AccumOffset: 20
; Occupancy: 8
; WaveLimiterHint : 1
; COMPUTE_PGM_RSRC2:SCRATCH_EN: 0
; COMPUTE_PGM_RSRC2:USER_SGPR: 6
; COMPUTE_PGM_RSRC2:TRAP_HANDLER: 0
; COMPUTE_PGM_RSRC2:TGID_X_EN: 1
; COMPUTE_PGM_RSRC2:TGID_Y_EN: 1
; COMPUTE_PGM_RSRC2:TGID_Z_EN: 0
; COMPUTE_PGM_RSRC2:TIDIG_COMP_CNT: 0
; COMPUTE_PGM_RSRC3_GFX90A:ACCUM_OFFSET: 4
; COMPUTE_PGM_RSRC3_GFX90A:TG_SPLIT: 0
	.section	.text._ZN9rocsolver6v33100L10reset_infoIiiiEEvPT_T0_T1_S4_,"axG",@progbits,_ZN9rocsolver6v33100L10reset_infoIiiiEEvPT_T0_T1_S4_,comdat
	.globl	_ZN9rocsolver6v33100L10reset_infoIiiiEEvPT_T0_T1_S4_ ; -- Begin function _ZN9rocsolver6v33100L10reset_infoIiiiEEvPT_T0_T1_S4_
	.p2align	8
	.type	_ZN9rocsolver6v33100L10reset_infoIiiiEEvPT_T0_T1_S4_,@function
_ZN9rocsolver6v33100L10reset_infoIiiiEEvPT_T0_T1_S4_: ; @_ZN9rocsolver6v33100L10reset_infoIiiiEEvPT_T0_T1_S4_
; %bb.0:
	s_load_dword s7, s[4:5], 0x24
	s_load_dwordx4 s[0:3], s[4:5], 0x8
	s_waitcnt lgkmcnt(0)
	s_and_b32 s3, s7, 0xffff
	s_mul_i32 s6, s6, s3
	v_add_u32_e32 v0, s6, v0
	v_cmp_gt_i32_e32 vcc, s0, v0
	s_and_saveexec_b64 s[6:7], vcc
	s_cbranch_execz .LBB1_2
; %bb.1:
	s_load_dwordx2 s[4:5], s[4:5], 0x0
	v_ashrrev_i32_e32 v1, 31, v0
	v_lshlrev_b64 v[2:3], 2, v[0:1]
	v_mul_lo_u32 v0, v0, s2
	v_add_u32_e32 v0, s1, v0
	s_waitcnt lgkmcnt(0)
	v_mov_b32_e32 v1, s5
	v_add_co_u32_e32 v2, vcc, s4, v2
	v_addc_co_u32_e32 v3, vcc, v1, v3, vcc
	global_store_dword v[2:3], v0, off
.LBB1_2:
	s_endpgm
	.section	.rodata,"a",@progbits
	.p2align	6, 0x0
	.amdhsa_kernel _ZN9rocsolver6v33100L10reset_infoIiiiEEvPT_T0_T1_S4_
		.amdhsa_group_segment_fixed_size 0
		.amdhsa_private_segment_fixed_size 0
		.amdhsa_kernarg_size 280
		.amdhsa_user_sgpr_count 6
		.amdhsa_user_sgpr_private_segment_buffer 1
		.amdhsa_user_sgpr_dispatch_ptr 0
		.amdhsa_user_sgpr_queue_ptr 0
		.amdhsa_user_sgpr_kernarg_segment_ptr 1
		.amdhsa_user_sgpr_dispatch_id 0
		.amdhsa_user_sgpr_flat_scratch_init 0
		.amdhsa_user_sgpr_kernarg_preload_length 0
		.amdhsa_user_sgpr_kernarg_preload_offset 0
		.amdhsa_user_sgpr_private_segment_size 0
		.amdhsa_uses_dynamic_stack 0
		.amdhsa_system_sgpr_private_segment_wavefront_offset 0
		.amdhsa_system_sgpr_workgroup_id_x 1
		.amdhsa_system_sgpr_workgroup_id_y 0
		.amdhsa_system_sgpr_workgroup_id_z 0
		.amdhsa_system_sgpr_workgroup_info 0
		.amdhsa_system_vgpr_workitem_id 0
		.amdhsa_next_free_vgpr 4
		.amdhsa_next_free_sgpr 8
		.amdhsa_accum_offset 4
		.amdhsa_reserve_vcc 1
		.amdhsa_reserve_flat_scratch 0
		.amdhsa_float_round_mode_32 0
		.amdhsa_float_round_mode_16_64 0
		.amdhsa_float_denorm_mode_32 3
		.amdhsa_float_denorm_mode_16_64 3
		.amdhsa_dx10_clamp 1
		.amdhsa_ieee_mode 1
		.amdhsa_fp16_overflow 0
		.amdhsa_tg_split 0
		.amdhsa_exception_fp_ieee_invalid_op 0
		.amdhsa_exception_fp_denorm_src 0
		.amdhsa_exception_fp_ieee_div_zero 0
		.amdhsa_exception_fp_ieee_overflow 0
		.amdhsa_exception_fp_ieee_underflow 0
		.amdhsa_exception_fp_ieee_inexact 0
		.amdhsa_exception_int_div_zero 0
	.end_amdhsa_kernel
	.section	.text._ZN9rocsolver6v33100L10reset_infoIiiiEEvPT_T0_T1_S4_,"axG",@progbits,_ZN9rocsolver6v33100L10reset_infoIiiiEEvPT_T0_T1_S4_,comdat
.Lfunc_end1:
	.size	_ZN9rocsolver6v33100L10reset_infoIiiiEEvPT_T0_T1_S4_, .Lfunc_end1-_ZN9rocsolver6v33100L10reset_infoIiiiEEvPT_T0_T1_S4_
                                        ; -- End function
	.section	.AMDGPU.csdata,"",@progbits
; Kernel info:
; codeLenInByte = 108
; NumSgprs: 12
; NumVgprs: 4
; NumAgprs: 0
; TotalNumVgprs: 4
; ScratchSize: 0
; MemoryBound: 0
; FloatMode: 240
; IeeeMode: 1
; LDSByteSize: 0 bytes/workgroup (compile time only)
; SGPRBlocks: 1
; VGPRBlocks: 0
; NumSGPRsForWavesPerEU: 12
; NumVGPRsForWavesPerEU: 4
; AccumOffset: 4
; Occupancy: 8
; WaveLimiterHint : 0
; COMPUTE_PGM_RSRC2:SCRATCH_EN: 0
; COMPUTE_PGM_RSRC2:USER_SGPR: 6
; COMPUTE_PGM_RSRC2:TRAP_HANDLER: 0
; COMPUTE_PGM_RSRC2:TGID_X_EN: 1
; COMPUTE_PGM_RSRC2:TGID_Y_EN: 0
; COMPUTE_PGM_RSRC2:TGID_Z_EN: 0
; COMPUTE_PGM_RSRC2:TIDIG_COMP_CNT: 0
; COMPUTE_PGM_RSRC3_GFX90A:ACCUM_OFFSET: 0
; COMPUTE_PGM_RSRC3_GFX90A:TG_SPLIT: 0
	.section	.text._ZN9rocsolver6v33100L16reset_batch_infoIfiiPfEEvT2_lT0_T1_,"axG",@progbits,_ZN9rocsolver6v33100L16reset_batch_infoIfiiPfEEvT2_lT0_T1_,comdat
	.globl	_ZN9rocsolver6v33100L16reset_batch_infoIfiiPfEEvT2_lT0_T1_ ; -- Begin function _ZN9rocsolver6v33100L16reset_batch_infoIfiiPfEEvT2_lT0_T1_
	.p2align	8
	.type	_ZN9rocsolver6v33100L16reset_batch_infoIfiiPfEEvT2_lT0_T1_,@function
_ZN9rocsolver6v33100L16reset_batch_infoIfiiPfEEvT2_lT0_T1_: ; @_ZN9rocsolver6v33100L16reset_batch_infoIfiiPfEEvT2_lT0_T1_
; %bb.0:
	s_load_dword s2, s[4:5], 0x24
	s_load_dwordx2 s[0:1], s[4:5], 0x10
	s_waitcnt lgkmcnt(0)
	s_and_b32 s2, s2, 0xffff
	s_mul_i32 s6, s6, s2
	v_add_u32_e32 v0, s6, v0
	v_cmp_gt_i32_e32 vcc, s0, v0
	s_and_saveexec_b64 s[2:3], vcc
	s_cbranch_execz .LBB2_2
; %bb.1:
	s_load_dwordx4 s[8:11], s[4:5], 0x0
	s_ashr_i32 s0, s7, 31
	v_ashrrev_i32_e32 v1, 31, v0
	v_cvt_f32_i32_e32 v3, s1
	v_lshlrev_b64 v[0:1], 2, v[0:1]
	s_waitcnt lgkmcnt(0)
	s_mul_i32 s3, s7, s11
	s_mul_hi_u32 s4, s7, s10
	s_mul_i32 s0, s0, s10
	s_add_i32 s3, s4, s3
	s_mul_i32 s2, s7, s10
	s_add_i32 s3, s3, s0
	s_lshl_b64 s[2:3], s[2:3], 2
	s_add_u32 s0, s8, s2
	s_addc_u32 s2, s9, s3
	v_mov_b32_e32 v2, s2
	v_add_co_u32_e32 v0, vcc, s0, v0
	v_addc_co_u32_e32 v1, vcc, v2, v1, vcc
	global_store_dword v[0:1], v3, off
.LBB2_2:
	s_endpgm
	.section	.rodata,"a",@progbits
	.p2align	6, 0x0
	.amdhsa_kernel _ZN9rocsolver6v33100L16reset_batch_infoIfiiPfEEvT2_lT0_T1_
		.amdhsa_group_segment_fixed_size 0
		.amdhsa_private_segment_fixed_size 0
		.amdhsa_kernarg_size 280
		.amdhsa_user_sgpr_count 6
		.amdhsa_user_sgpr_private_segment_buffer 1
		.amdhsa_user_sgpr_dispatch_ptr 0
		.amdhsa_user_sgpr_queue_ptr 0
		.amdhsa_user_sgpr_kernarg_segment_ptr 1
		.amdhsa_user_sgpr_dispatch_id 0
		.amdhsa_user_sgpr_flat_scratch_init 0
		.amdhsa_user_sgpr_kernarg_preload_length 0
		.amdhsa_user_sgpr_kernarg_preload_offset 0
		.amdhsa_user_sgpr_private_segment_size 0
		.amdhsa_uses_dynamic_stack 0
		.amdhsa_system_sgpr_private_segment_wavefront_offset 0
		.amdhsa_system_sgpr_workgroup_id_x 1
		.amdhsa_system_sgpr_workgroup_id_y 1
		.amdhsa_system_sgpr_workgroup_id_z 0
		.amdhsa_system_sgpr_workgroup_info 0
		.amdhsa_system_vgpr_workitem_id 0
		.amdhsa_next_free_vgpr 4
		.amdhsa_next_free_sgpr 12
		.amdhsa_accum_offset 4
		.amdhsa_reserve_vcc 1
		.amdhsa_reserve_flat_scratch 0
		.amdhsa_float_round_mode_32 0
		.amdhsa_float_round_mode_16_64 0
		.amdhsa_float_denorm_mode_32 3
		.amdhsa_float_denorm_mode_16_64 3
		.amdhsa_dx10_clamp 1
		.amdhsa_ieee_mode 1
		.amdhsa_fp16_overflow 0
		.amdhsa_tg_split 0
		.amdhsa_exception_fp_ieee_invalid_op 0
		.amdhsa_exception_fp_denorm_src 0
		.amdhsa_exception_fp_ieee_div_zero 0
		.amdhsa_exception_fp_ieee_overflow 0
		.amdhsa_exception_fp_ieee_underflow 0
		.amdhsa_exception_fp_ieee_inexact 0
		.amdhsa_exception_int_div_zero 0
	.end_amdhsa_kernel
	.section	.text._ZN9rocsolver6v33100L16reset_batch_infoIfiiPfEEvT2_lT0_T1_,"axG",@progbits,_ZN9rocsolver6v33100L16reset_batch_infoIfiiPfEEvT2_lT0_T1_,comdat
.Lfunc_end2:
	.size	_ZN9rocsolver6v33100L16reset_batch_infoIfiiPfEEvT2_lT0_T1_, .Lfunc_end2-_ZN9rocsolver6v33100L16reset_batch_infoIfiiPfEEvT2_lT0_T1_
                                        ; -- End function
	.section	.AMDGPU.csdata,"",@progbits
; Kernel info:
; codeLenInByte = 140
; NumSgprs: 16
; NumVgprs: 4
; NumAgprs: 0
; TotalNumVgprs: 4
; ScratchSize: 0
; MemoryBound: 0
; FloatMode: 240
; IeeeMode: 1
; LDSByteSize: 0 bytes/workgroup (compile time only)
; SGPRBlocks: 1
; VGPRBlocks: 0
; NumSGPRsForWavesPerEU: 16
; NumVGPRsForWavesPerEU: 4
; AccumOffset: 4
; Occupancy: 8
; WaveLimiterHint : 0
; COMPUTE_PGM_RSRC2:SCRATCH_EN: 0
; COMPUTE_PGM_RSRC2:USER_SGPR: 6
; COMPUTE_PGM_RSRC2:TRAP_HANDLER: 0
; COMPUTE_PGM_RSRC2:TGID_X_EN: 1
; COMPUTE_PGM_RSRC2:TGID_Y_EN: 1
; COMPUTE_PGM_RSRC2:TGID_Z_EN: 0
; COMPUTE_PGM_RSRC2:TIDIG_COMP_CNT: 0
; COMPUTE_PGM_RSRC3_GFX90A:ACCUM_OFFSET: 0
; COMPUTE_PGM_RSRC3_GFX90A:TG_SPLIT: 0
	.section	.text._ZN9rocsolver6v33100L12sterf_kernelIfEEviPT_lS3_lPiS4_iS2_S2_S2_,"axG",@progbits,_ZN9rocsolver6v33100L12sterf_kernelIfEEviPT_lS3_lPiS4_iS2_S2_S2_,comdat
	.globl	_ZN9rocsolver6v33100L12sterf_kernelIfEEviPT_lS3_lPiS4_iS2_S2_S2_ ; -- Begin function _ZN9rocsolver6v33100L12sterf_kernelIfEEviPT_lS3_lPiS4_iS2_S2_S2_
	.p2align	8
	.type	_ZN9rocsolver6v33100L12sterf_kernelIfEEviPT_lS3_lPiS4_iS2_S2_S2_,@function
_ZN9rocsolver6v33100L12sterf_kernelIfEEviPT_lS3_lPiS4_iS2_S2_S2_: ; @_ZN9rocsolver6v33100L12sterf_kernelIfEEviPT_lS3_lPiS4_iS2_S2_S2_
; %bb.0:
	s_load_dwordx8 s[12:19], s[4:5], 0x8
	s_load_dword s33, s[4:5], 0x0
	s_load_dwordx4 s[20:23], s[4:5], 0x38
	s_ashr_i32 s7, s6, 31
	s_waitcnt lgkmcnt(0)
	s_mul_i32 s0, s6, s15
	s_mul_hi_u32 s1, s6, s14
	s_add_i32 s0, s1, s0
	s_mul_i32 s1, s7, s14
	s_add_i32 s1, s0, s1
	s_mul_i32 s0, s6, s14
	s_lshl_b64 s[10:11], s[0:1], 2
	s_add_u32 s54, s12, s10
	s_mul_i32 s0, s6, s19
	s_mul_hi_u32 s1, s6, s18
	s_addc_u32 s55, s13, s11
	s_add_i32 s0, s1, s0
	s_mul_i32 s1, s7, s18
	s_add_i32 s1, s0, s1
	s_mul_i32 s0, s6, s18
	s_lshl_b64 s[0:1], s[0:1], 2
	s_add_u32 s14, s16, s0
	s_addc_u32 s15, s17, s1
	s_min_i32 s2, s33, s20
	s_cmp_lt_i32 s2, 1
	s_cbranch_scc1 .LBB3_158
; %bb.1:
	s_add_i32 s56, s33, -1
	s_add_u32 s57, s14, -4
	s_addc_u32 s58, s15, -1
	s_add_u32 s59, s54, -4
	s_addc_u32 s60, s55, -1
	s_add_u32 s61, s16, s0
	s_addc_u32 s62, s17, s1
	s_add_u32 s63, s61, -4
	s_addc_u32 s64, s62, -1
	s_add_u32 s65, s12, s10
	s_addc_u32 s66, s13, s11
	s_add_u32 s67, s65, 4
	s_addc_u32 s68, s66, 0
	s_add_u32 s69, s61, 4
	s_mov_b32 s18, 0x667f3bcd
	s_mov_b32 s24, 0.5
	v_mul_f32_e64 v1, s21, s21
	s_addc_u32 s70, s62, 0
	s_mov_b32 s17, 0
	v_mov_b32_e32 v4, 0
	s_mov_b32 s71, 0xf800000
	s_mov_b32 s72, 0x4f800000
	v_mov_b32_e32 v5, 0x260
	s_mov_b32 s19, 0x3ff6a09e
	s_mov_b32 s25, -0.5
	s_mov_b32 s73, 0
	s_mov_b32 s74, 0
	s_branch .LBB3_4
.LBB3_2:                                ;   in Loop: Header=BB3_4 Depth=1
	s_cmp_ge_i32 s41, s20
	s_cselect_b64 s[0:1], -1, 0
	s_cmp_ge_i32 s73, s33
	s_cselect_b64 s[2:3], -1, 0
	s_or_b64 s[2:3], s[2:3], s[0:1]
.LBB3_3:                                ;   in Loop: Header=BB3_4 Depth=1
	s_and_b64 vcc, exec, s[2:3]
	s_mov_b32 s74, s41
	s_cbranch_vccnz .LBB3_158
.LBB3_4:                                ; =>This Loop Header: Depth=1
                                        ;     Child Loop BB3_6 Depth 2
                                        ;       Child Loop BB3_12 Depth 3
                                        ;       Child Loop BB3_19 Depth 3
                                        ;     Child Loop BB3_36 Depth 2
                                        ;     Child Loop BB3_30 Depth 2
	;; [unrolled: 1-line block ×5, first 2 shown]
                                        ;       Child Loop BB3_57 Depth 3
                                        ;       Child Loop BB3_69 Depth 3
                                        ;     Child Loop BB3_103 Depth 2
                                        ;       Child Loop BB3_105 Depth 3
                                        ;       Child Loop BB3_118 Depth 3
                                        ;     Child Loop BB3_153 Depth 2
                                        ;     Child Loop BB3_157 Depth 2
	s_mov_b32 s16, s73
	s_branch .LBB3_6
.LBB3_5:                                ;   in Loop: Header=BB3_6 Depth=2
	s_andn2_b64 vcc, exec, s[2:3]
	s_mov_b32 s16, s73
	s_cbranch_vccz .LBB3_25
.LBB3_6:                                ;   Parent Loop BB3_4 Depth=1
                                        ; =>  This Loop Header: Depth=2
                                        ;       Child Loop BB3_12 Depth 3
                                        ;       Child Loop BB3_19 Depth 3
	s_cmp_gt_i32 s16, 0
	s_mov_b64 s[0:1], -1
                                        ; implicit-def: $sgpr8_sgpr9
	s_cbranch_scc1 .LBB3_8
; %bb.7:                                ;   in Loop: Header=BB3_6 Depth=2
	s_mov_b64 s[0:1], 0
	s_mov_b64 s[8:9], s[16:17]
.LBB3_8:                                ;   in Loop: Header=BB3_6 Depth=2
	s_andn2_b64 vcc, exec, s[0:1]
	s_cbranch_vccnz .LBB3_10
; %bb.9:                                ;   in Loop: Header=BB3_6 Depth=2
	s_lshl_b64 s[0:1], s[16:17], 2
	s_add_u32 s0, s57, s0
	s_addc_u32 s1, s58, s1
	s_mov_b64 s[8:9], s[16:17]
	global_store_dword v4, v4, s[0:1]
.LBB3_10:                               ;   in Loop: Header=BB3_6 Depth=2
	s_lshl_b64 s[28:29], s[8:9], 2
	s_add_u32 s0, s63, s28
	s_addc_u32 s1, s64, s29
	s_add_u32 s30, s67, s28
	s_addc_u32 s31, s68, s29
	s_mov_b32 s73, s16
	s_branch .LBB3_12
.LBB3_11:                               ;   in Loop: Header=BB3_12 Depth=3
	s_andn2_b64 vcc, exec, s[2:3]
	s_cbranch_vccz .LBB3_14
.LBB3_12:                               ;   Parent Loop BB3_4 Depth=1
                                        ;     Parent Loop BB3_6 Depth=2
                                        ; =>    This Inner Loop Header: Depth=3
	s_mov_b64 s[36:37], -1
	s_mov_b32 s26, s73
	s_cmp_ge_i32 s73, s56
	s_mov_b64 s[2:3], -1
                                        ; implicit-def: $sgpr73
                                        ; implicit-def: $sgpr34_sgpr35
	s_cbranch_scc1 .LBB3_11
; %bb.13:                               ;   in Loop: Header=BB3_12 Depth=3
	global_load_dwordx2 v[2:3], v4, s[30:31] offset:-4
	global_load_dword v0, v4, s[0:1] offset:4
	s_add_u32 s34, s0, 4
	s_addc_u32 s35, s1, 0
	s_add_i32 s73, s26, 1
	s_add_u32 s30, s30, 4
	s_mov_b64 s[36:37], 0
	s_addc_u32 s31, s31, 0
	s_waitcnt vmcnt(1)
	v_mul_f32_e64 v6, |v2|, s72
	v_cmp_lt_f32_e64 vcc, |v2|, s71
	v_mul_f32_e64 v7, |v3|, s72
	v_cndmask_b32_e64 v2, |v2|, v6, vcc
	v_cmp_lt_f32_e64 s[0:1], |v3|, s71
	v_sqrt_f32_e32 v6, v2
	v_cndmask_b32_e64 v3, |v3|, v7, s[0:1]
	v_sqrt_f32_e32 v7, v3
	v_add_u32_e32 v8, -1, v6
	v_fma_f32 v12, -v8, v6, v2
	v_add_u32_e32 v10, -1, v7
	v_add_u32_e32 v9, 1, v6
	v_fma_f32 v14, -v10, v7, v3
	v_cmp_ge_f32_e64 s[2:3], 0, v12
	v_add_u32_e32 v11, 1, v7
	v_fma_f32 v13, -v9, v6, v2
	v_cndmask_b32_e64 v6, v6, v8, s[2:3]
	v_cmp_ge_f32_e64 s[2:3], 0, v14
	v_fma_f32 v15, -v11, v7, v3
	v_cndmask_b32_e64 v7, v7, v10, s[2:3]
	v_cmp_lt_f32_e64 s[2:3], 0, v13
	v_cndmask_b32_e64 v6, v6, v9, s[2:3]
	v_cmp_lt_f32_e64 s[2:3], 0, v15
	v_cndmask_b32_e64 v7, v7, v11, s[2:3]
	v_mul_f32_e32 v8, 0x37800000, v6
	v_mul_f32_e32 v9, 0x37800000, v7
	v_cndmask_b32_e32 v6, v6, v8, vcc
	v_cmp_class_f32_e32 vcc, v2, v5
	v_cndmask_b32_e64 v7, v7, v9, s[0:1]
	v_cndmask_b32_e32 v2, v6, v2, vcc
	v_cmp_class_f32_e32 vcc, v3, v5
	v_cndmask_b32_e32 v3, v7, v3, vcc
	v_mul_f32_e32 v2, v2, v3
	v_mul_f32_e32 v2, s21, v2
	s_waitcnt vmcnt(0)
	v_cmp_le_f32_e64 s[2:3], |v0|, v2
	s_mov_b64 s[0:1], s[34:35]
	s_branch .LBB3_11
.LBB3_14:                               ;   in Loop: Header=BB3_6 Depth=2
	s_andn2_b64 vcc, exec, s[36:37]
	s_mov_b64 s[0:1], -1
	s_cbranch_vccnz .LBB3_21
; %bb.15:                               ;   in Loop: Header=BB3_6 Depth=2
	s_andn2_b64 vcc, exec, s[0:1]
	s_cbranch_vccz .LBB3_22
.LBB3_16:                               ;   in Loop: Header=BB3_6 Depth=2
	s_cmp_lg_u32 s26, s16
	s_mov_b64 s[2:3], -1
	s_cbranch_scc0 .LBB3_23
.LBB3_17:                               ;   in Loop: Header=BB3_6 Depth=2
	s_mov_b32 s27, s17
	s_lshl_b64 s[0:1], s[26:27], 2
	s_add_u32 s30, s54, s0
	s_addc_u32 s31, s55, s1
	global_load_dword v0, v4, s[30:31]
	s_cmp_lt_i32 s16, s26
	s_cselect_b64 s[0:1], -1, 0
	s_cmp_ge_i32 s16, s26
	s_waitcnt vmcnt(0)
	v_and_b32_e32 v6, 0x7fffffff, v0
	s_cbranch_scc1 .LBB3_20
; %bb.18:                               ;   in Loop: Header=BB3_6 Depth=2
	s_add_u32 s34, s65, s28
	s_addc_u32 s35, s66, s29
	s_add_u32 s36, s61, s28
	s_addc_u32 s37, s62, s29
	s_mov_b32 s27, s16
.LBB3_19:                               ;   Parent Loop BB3_4 Depth=1
                                        ;     Parent Loop BB3_6 Depth=2
                                        ; =>    This Inner Loop Header: Depth=3
	global_load_dword v2, v4, s[34:35]
	global_load_dword v3, v4, s[36:37]
	s_add_i32 s27, s27, 1
	s_add_u32 s34, s34, 4
	s_addc_u32 s35, s35, 0
	s_add_u32 s36, s36, 4
	s_addc_u32 s37, s37, 0
	s_cmp_lt_i32 s27, s26
	s_waitcnt vmcnt(0)
	v_max3_f32 v6, v6, |v2|, |v3|
	s_cbranch_scc1 .LBB3_19
.LBB3_20:                               ;   in Loop: Header=BB3_6 Depth=2
	v_cmp_eq_f32_e64 s[36:37], 0, v6
	s_mov_b64 s[34:35], -1
	s_and_b64 vcc, exec, s[36:37]
	s_mov_b32 s27, s16
	s_cbranch_vccz .LBB3_5
	s_branch .LBB3_24
.LBB3_21:                               ;   in Loop: Header=BB3_6 Depth=2
	global_store_dword v4, v4, s[34:35]
	s_cbranch_execnz .LBB3_16
.LBB3_22:                               ;   in Loop: Header=BB3_6 Depth=2
	s_max_i32 s26, s16, s56
	s_add_i32 s73, s26, 1
	s_cmp_lg_u32 s26, s16
	s_mov_b64 s[2:3], -1
	s_cbranch_scc1 .LBB3_17
.LBB3_23:                               ;   in Loop: Header=BB3_6 Depth=2
                                        ; implicit-def: $sgpr34_sgpr35
                                        ; implicit-def: $sgpr30_sgpr31
                                        ; implicit-def: $vgpr0
                                        ; implicit-def: $sgpr0_sgpr1
                                        ; implicit-def: $vgpr6
	s_mov_b32 s27, s16
	s_cbranch_execz .LBB3_5
.LBB3_24:                               ;   in Loop: Header=BB3_6 Depth=2
	s_cmp_ge_i32 s73, s33
	s_mov_b64 s[34:35], 0
	s_cselect_b64 s[2:3], -1, 0
	s_mov_b32 s27, s16
	s_branch .LBB3_5
.LBB3_25:                               ;   in Loop: Header=BB3_4 Depth=1
	s_mov_b64 s[2:3], -1
	s_and_b64 vcc, exec, s[34:35]
                                        ; implicit-def: $sgpr41
	s_cbranch_vccz .LBB3_3
; %bb.26:                               ;   in Loop: Header=BB3_4 Depth=1
	v_cmp_nlt_f32_e32 vcc, s23, v6
	s_cbranch_vccz .LBB3_32
; %bb.27:                               ;   in Loop: Header=BB3_4 Depth=1
	v_cmp_gt_f32_e32 vcc, s22, v6
	s_cbranch_vccz .LBB3_33
; %bb.28:                               ;   in Loop: Header=BB3_4 Depth=1
	s_waitcnt vmcnt(0)
	v_div_scale_f32 v2, s[2:3], s22, s22, v6
	v_rcp_f32_e32 v3, v2
	v_div_scale_f32 v7, vcc, v6, s22, v6
	s_mov_b64 s[2:3], 0
	v_fma_f32 v8, -v2, v3, 1.0
	v_fmac_f32_e32 v3, v8, v3
	v_mul_f32_e32 v8, v7, v3
	v_fma_f32 v9, -v2, v8, v7
	v_fmac_f32_e32 v8, v9, v3
	v_fma_f32 v2, -v2, v8, v7
	v_div_fmas_f32 v2, v2, v3, v8
	v_div_fixup_f32 v2, v2, s22, v6
	v_mul_f32_e32 v3, v0, v2
	s_and_b64 vcc, exec, s[0:1]
	global_store_dword v4, v3, s[30:31]
	s_cbranch_vccz .LBB3_33
; %bb.29:                               ;   in Loop: Header=BB3_4 Depth=1
	s_add_u32 s2, s65, s28
	s_addc_u32 s3, s66, s29
	s_add_u32 s34, s61, s28
	s_addc_u32 s35, s62, s29
	s_mov_b32 s16, s27
.LBB3_30:                               ;   Parent Loop BB3_4 Depth=1
                                        ; =>  This Inner Loop Header: Depth=2
	global_load_dword v3, v4, s[2:3]
	s_add_i32 s16, s16, 1
	s_waitcnt vmcnt(0)
	v_mul_f32_e32 v3, v2, v3
	global_store_dword v4, v3, s[2:3]
	global_load_dword v3, v4, s[34:35]
	s_add_u32 s2, s2, 4
	s_addc_u32 s3, s3, 0
	s_waitcnt vmcnt(0)
	v_mul_f32_e32 v3, v2, v3
	global_store_dword v4, v3, s[34:35]
	s_add_u32 s34, s34, 4
	s_addc_u32 s35, s35, 0
	s_cmp_lt_i32 s16, s26
	s_cbranch_scc1 .LBB3_30
; %bb.31:                               ;   in Loop: Header=BB3_4 Depth=1
	s_mov_b64 s[2:3], -1
	s_branch .LBB3_38
.LBB3_32:                               ;   in Loop: Header=BB3_4 Depth=1
	s_mov_b64 s[2:3], 0
	s_cbranch_execnz .LBB3_34
	s_branch .LBB3_38
.LBB3_33:                               ;   in Loop: Header=BB3_4 Depth=1
	s_branch .LBB3_38
.LBB3_34:                               ;   in Loop: Header=BB3_4 Depth=1
	s_waitcnt vmcnt(0)
	v_div_scale_f32 v2, s[34:35], s23, s23, v6
	v_rcp_f32_e32 v3, v2
	v_div_scale_f32 v7, vcc, v6, s23, v6
	v_fma_f32 v8, -v2, v3, 1.0
	v_fmac_f32_e32 v3, v8, v3
	v_mul_f32_e32 v8, v7, v3
	v_fma_f32 v9, -v2, v8, v7
	v_fmac_f32_e32 v8, v9, v3
	v_fma_f32 v2, -v2, v8, v7
	v_div_fmas_f32 v2, v2, v3, v8
	v_div_fixup_f32 v2, v2, s23, v6
	v_mul_f32_e32 v0, v0, v2
	s_and_b64 vcc, exec, s[0:1]
	global_store_dword v4, v0, s[30:31]
	s_cbranch_vccz .LBB3_38
; %bb.35:                               ;   in Loop: Header=BB3_4 Depth=1
	s_add_u32 s2, s65, s28
	s_addc_u32 s3, s66, s29
	s_add_u32 s34, s61, s28
	s_addc_u32 s35, s62, s29
	s_mov_b32 s16, s27
.LBB3_36:                               ;   Parent Loop BB3_4 Depth=1
                                        ; =>  This Inner Loop Header: Depth=2
	global_load_dword v0, v4, s[2:3]
	s_add_i32 s16, s16, 1
	s_waitcnt vmcnt(0)
	v_mul_f32_e32 v0, v2, v0
	global_store_dword v4, v0, s[2:3]
	global_load_dword v0, v4, s[34:35]
	s_add_u32 s2, s2, 4
	s_addc_u32 s3, s3, 0
	s_waitcnt vmcnt(0)
	v_mul_f32_e32 v0, v2, v0
	global_store_dword v4, v0, s[34:35]
	s_add_u32 s34, s34, 4
	s_addc_u32 s35, s35, 0
	s_cmp_ge_i32 s16, s26
	s_cbranch_scc0 .LBB3_36
; %bb.37:                               ;   in Loop: Header=BB3_4 Depth=1
	s_mov_b64 s[2:3], -1
.LBB3_38:                               ;   in Loop: Header=BB3_4 Depth=1
	v_cndmask_b32_e64 v0, 0, 1, s[0:1]
	s_and_b64 vcc, exec, s[2:3]
	v_cmp_ne_u32_e64 s[0:1], 1, v0
	s_cbranch_vccz .LBB3_48
; %bb.39:                               ;   in Loop: Header=BB3_4 Depth=1
	s_and_b64 vcc, exec, s[0:1]
	s_cbranch_vccnz .LBB3_48
; %bb.40:                               ;   in Loop: Header=BB3_4 Depth=1
	s_add_i32 s2, s27, 1
	s_max_i32 s2, s26, s2
	s_sub_i32 s36, s2, s27
	s_mov_b64 s[34:35], -1
	s_cmp_lt_u32 s36, 2
	s_mov_b32 s16, s27
	s_mov_b64 s[2:3], s[28:29]
	s_cbranch_scc1 .LBB3_45
; %bb.41:                               ;   in Loop: Header=BB3_4 Depth=1
	s_and_b32 s37, s36, -2
	s_mov_b32 s16, s27
	s_mov_b32 s2, s37
.LBB3_42:                               ;   Parent Loop BB3_4 Depth=1
                                        ; =>  This Inner Loop Header: Depth=2
	s_lshl_b64 s[34:35], s[16:17], 2
	s_add_u32 s34, s14, s34
	s_addc_u32 s35, s15, s35
	global_load_dwordx2 v[2:3], v4, s[34:35]
	s_add_i32 s2, s2, -2
	s_add_i32 s16, s16, 2
	s_cmp_lg_u32 s2, 0
	s_waitcnt vmcnt(0)
	v_pk_mul_f32 v[2:3], v[2:3], v[2:3]
	global_store_dwordx2 v4, v[2:3], s[34:35]
	s_cbranch_scc1 .LBB3_42
; %bb.43:                               ;   in Loop: Header=BB3_4 Depth=1
	s_cmp_eq_u32 s36, s37
	s_mov_b64 s[34:35], 0
                                        ; implicit-def: $sgpr2_sgpr3
	s_cbranch_scc1 .LBB3_45
; %bb.44:                               ;   in Loop: Header=BB3_4 Depth=1
	s_add_i32 s16, s27, s37
	s_lshl_b64 s[2:3], s[16:17], 2
	s_mov_b64 s[34:35], -1
.LBB3_45:                               ;   in Loop: Header=BB3_4 Depth=1
	s_and_b64 vcc, exec, s[34:35]
	s_cbranch_vccz .LBB3_48
; %bb.46:                               ;   in Loop: Header=BB3_4 Depth=1
	s_add_u32 s2, s61, s2
	s_addc_u32 s3, s62, s3
.LBB3_47:                               ;   Parent Loop BB3_4 Depth=1
                                        ; =>  This Inner Loop Header: Depth=2
	global_load_dword v0, v4, s[2:3]
	s_add_i32 s16, s16, 1
	s_waitcnt vmcnt(0)
	v_mul_f32_e32 v0, v0, v0
	global_store_dword v4, v0, s[2:3]
	s_add_u32 s2, s2, 4
	s_addc_u32 s3, s3, 0
	s_cmp_lt_i32 s16, s26
	s_cbranch_scc1 .LBB3_47
.LBB3_48:                               ;   in Loop: Header=BB3_4 Depth=1
	s_lshl_b64 s[2:3], s[8:9], 2
	s_add_u32 s2, s54, s2
	s_addc_u32 s3, s55, s3
	global_load_dword v0, v4, s[30:31]
	global_load_dword v2, v4, s[2:3]
	s_mov_b64 s[8:9], -1
                                        ; implicit-def: $sgpr41
	s_waitcnt vmcnt(0)
	v_cmp_lt_f32_e64 s[2:3], |v0|, |v2|
	s_and_b64 s[2:3], s[2:3], exec
	s_cselect_b32 s75, s27, s26
	s_cselect_b32 s34, s26, s27
	s_cmp_lt_i32 s74, s20
	s_cselect_b64 s[2:3], -1, 0
	v_cndmask_b32_e64 v0, 0, 1, s[2:3]
	s_cmp_lt_i32 s75, s34
	v_cmp_ne_u32_e64 s[2:3], 1, v0
	s_cbranch_scc0 .LBB3_51
; %bb.49:                               ;   in Loop: Header=BB3_4 Depth=1
	s_andn2_b64 vcc, exec, s[8:9]
	s_cbranch_vccz .LBB3_53
.LBB3_50:                               ;   in Loop: Header=BB3_4 Depth=1
	v_cmp_lt_f32_e32 vcc, s23, v6
	s_andn2_b64 vcc, exec, vcc
	s_cbranch_vccz .LBB3_151
	s_branch .LBB3_154
.LBB3_51:                               ;   in Loop: Header=BB3_4 Depth=1
	s_and_b64 vcc, exec, s[2:3]
	s_mov_b32 s41, s74
	s_mov_b32 s16, s34
	s_mov_b32 s35, s74
	s_cbranch_vccz .LBB3_55
.LBB3_52:                               ;   in Loop: Header=BB3_4 Depth=1
	s_cbranch_execnz .LBB3_50
.LBB3_53:                               ;   in Loop: Header=BB3_4 Depth=1
	s_and_b64 vcc, exec, s[2:3]
	s_cbranch_vccz .LBB3_103
	s_branch .LBB3_150
.LBB3_54:                               ;   in Loop: Header=BB3_55 Depth=2
	s_andn2_b64 vcc, exec, s[36:37]
	s_mov_b32 s16, s46
	s_cbranch_vccz .LBB3_52
.LBB3_55:                               ;   Parent Loop BB3_4 Depth=1
                                        ; =>  This Loop Header: Depth=2
                                        ;       Child Loop BB3_57 Depth 3
                                        ;       Child Loop BB3_69 Depth 3
	s_max_i32 s40, s75, s16
	s_lshl_b64 s[42:43], s[16:17], 2
	s_add_u32 s36, s63, s42
	s_addc_u32 s37, s64, s43
	s_add_u32 s8, s67, s42
	s_addc_u32 s9, s68, s43
	s_mov_b32 s48, s16
	s_branch .LBB3_57
.LBB3_56:                               ;   in Loop: Header=BB3_57 Depth=3
	s_andn2_b64 vcc, exec, s[46:47]
	s_cbranch_vccz .LBB3_59
.LBB3_57:                               ;   Parent Loop BB3_4 Depth=1
                                        ;     Parent Loop BB3_55 Depth=2
                                        ; =>    This Inner Loop Header: Depth=3
	s_mov_b64 s[44:45], -1
	s_mov_b32 s41, s48
	s_cmp_ge_i32 s48, s75
	s_mov_b64 s[46:47], -1
                                        ; implicit-def: $sgpr48
                                        ; implicit-def: $sgpr38_sgpr39
	s_cbranch_scc1 .LBB3_56
; %bb.58:                               ;   in Loop: Header=BB3_57 Depth=3
	global_load_dwordx2 v[2:3], v4, s[8:9] offset:-4
	global_load_dword v0, v4, s[36:37] offset:4
	s_add_u32 s38, s36, 4
	s_addc_u32 s39, s37, 0
	s_add_i32 s48, s41, 1
	s_add_u32 s8, s8, 4
	s_mov_b64 s[44:45], 0
	s_addc_u32 s9, s9, 0
	s_mov_b64 s[36:37], s[38:39]
	s_waitcnt vmcnt(1)
	v_mul_f32_e32 v2, v2, v3
	v_mul_f32_e64 v2, v1, |v2|
	s_waitcnt vmcnt(0)
	v_cmp_le_f32_e64 s[46:47], |v0|, v2
	s_branch .LBB3_56
.LBB3_59:                               ;   in Loop: Header=BB3_55 Depth=2
	s_andn2_b64 vcc, exec, s[44:45]
	s_cbranch_vccz .LBB3_61
; %bb.60:                               ;   in Loop: Header=BB3_55 Depth=2
	s_mov_b32 s40, s41
	global_store_dword v4, v4, s[38:39]
.LBB3_61:                               ;   in Loop: Header=BB3_55 Depth=2
	s_add_i32 s46, s16, 1
	s_cmp_eq_u32 s40, s16
	s_mov_b64 s[36:37], -1
	s_cbranch_scc1 .LBB3_77
; %bb.62:                               ;   in Loop: Header=BB3_55 Depth=2
	s_add_u32 s38, s54, s42
	s_addc_u32 s39, s55, s43
	global_load_dword v2, v4, s[38:39]
	s_cmp_lg_u32 s40, s46
	s_cbranch_scc0 .LBB3_78
; %bb.63:                               ;   in Loop: Header=BB3_55 Depth=2
	s_mov_b64 s[44:45], 0
	s_cmp_lg_u32 s35, s20
	s_mov_b64 s[8:9], 0
                                        ; implicit-def: $sgpr48
	s_cbranch_scc0 .LBB3_82
; %bb.64:                               ;   in Loop: Header=BB3_55 Depth=2
	s_add_u32 s46, s14, s42
	s_addc_u32 s47, s15, s43
	global_load_dword v0, v4, s[46:47]
	s_mov_b32 s41, s17
	s_lshl_b64 s[8:9], s[40:41], 2
	s_add_u32 s8, s54, s8
	s_addc_u32 s9, s55, s9
	global_load_dword v3, v4, s[8:9]
	global_load_dword v7, v4, s[38:39] offset:4
	s_cmp_le_i32 s40, s16
	s_waitcnt vmcnt(2)
	v_mul_f32_e32 v8, 0x4f800000, v0
	v_cmp_gt_f32_e32 vcc, s71, v0
	v_cndmask_b32_e32 v0, v0, v8, vcc
	v_sqrt_f32_e32 v8, v0
	s_waitcnt vmcnt(0)
	v_sub_f32_e32 v7, v7, v2
	v_add_u32_e32 v9, -1, v8
	v_add_u32_e32 v10, 1, v8
	v_fma_f32 v11, -v9, v8, v0
	v_fma_f32 v12, -v10, v8, v0
	v_cmp_ge_f32_e64 s[8:9], 0, v11
	v_cndmask_b32_e64 v8, v8, v9, s[8:9]
	v_cmp_lt_f32_e64 s[8:9], 0, v12
	v_cndmask_b32_e64 v8, v8, v10, s[8:9]
	v_mul_f32_e32 v9, 0x37800000, v8
	v_cndmask_b32_e32 v8, v8, v9, vcc
	v_cmp_class_f32_e32 vcc, v0, v5
	v_cndmask_b32_e32 v0, v8, v0, vcc
	v_add_f32_e32 v8, v0, v0
	v_div_scale_f32 v9, s[8:9], v8, v8, v7
	v_rcp_f32_e32 v10, v9
	v_div_scale_f32 v11, vcc, v7, v8, v7
	v_fma_f32 v12, -v9, v10, 1.0
	v_fmac_f32_e32 v10, v12, v10
	v_mul_f32_e32 v12, v11, v10
	v_fma_f32 v13, -v9, v12, v11
	v_fmac_f32_e32 v12, v13, v10
	v_fma_f32 v9, -v9, v12, v11
	v_div_fmas_f32 v9, v9, v10, v12
	v_div_fixup_f32 v7, v9, v8, v7
	v_fma_f32 v8, v7, v7, 1.0
	v_mul_f32_e32 v9, 0x4f800000, v8
	v_cmp_gt_f32_e32 vcc, s71, v8
	v_cndmask_b32_e32 v8, v8, v9, vcc
	v_sqrt_f32_e32 v9, v8
	v_add_u32_e32 v10, -1, v9
	v_add_u32_e32 v11, 1, v9
	v_fma_f32 v12, -v10, v9, v8
	v_fma_f32 v13, -v11, v9, v8
	v_cmp_ge_f32_e64 s[8:9], 0, v12
	v_cndmask_b32_e64 v9, v9, v10, s[8:9]
	v_cmp_lt_f32_e64 s[8:9], 0, v13
	v_cndmask_b32_e64 v9, v9, v11, s[8:9]
	v_mul_f32_e32 v10, 0x37800000, v9
	v_cndmask_b32_e32 v9, v9, v10, vcc
	v_cmp_class_f32_e32 vcc, v8, v5
	v_cndmask_b32_e32 v8, v9, v8, vcc
	v_cmp_nle_f32_e32 vcc, 0, v7
	v_cndmask_b32_e64 v8, |v8|, -|v8|, vcc
	v_add_f32_e32 v7, v7, v8
	v_div_scale_f32 v8, s[8:9], v7, v7, v0
	v_rcp_f32_e32 v9, v8
	v_div_scale_f32 v10, vcc, v0, v7, v0
	v_fma_f32 v11, -v8, v9, 1.0
	v_fmac_f32_e32 v9, v11, v9
	v_mul_f32_e32 v11, v10, v9
	v_fma_f32 v12, -v8, v11, v10
	v_fmac_f32_e32 v11, v12, v9
	v_fma_f32 v8, -v8, v11, v10
	v_div_fmas_f32 v8, v8, v9, v11
	v_div_fixup_f32 v0, v8, v7, v0
	v_sub_f32_e32 v0, v2, v0
	v_sub_f32_e32 v8, v3, v0
	v_mul_f32_e32 v9, v8, v8
	v_mov_b32_e32 v7, 0
	s_cbranch_scc1 .LBB3_81
; %bb.65:                               ;   in Loop: Header=BB3_55 Depth=2
	s_ashr_i32 s41, s40, 31
	s_lshl_b64 s[8:9], s[40:41], 2
	s_add_u32 s48, s57, s8
	s_addc_u32 s49, s58, s9
	global_load_dword v3, v4, s[48:49]
	s_add_u32 s48, s59, s8
	s_addc_u32 s49, s60, s9
	global_load_dword v11, v4, s[48:49]
	s_add_u32 s48, s54, s8
	s_addc_u32 s49, s55, s9
	s_waitcnt vmcnt(1)
	v_add_f32_e32 v7, v9, v3
	v_div_scale_f32 v10, s[8:9], v7, v7, v9
	v_div_scale_f32 v13, s[8:9], v7, v7, v3
	v_rcp_f32_e32 v14, v10
	v_rcp_f32_e32 v15, v13
	v_div_scale_f32 v12, vcc, v9, v7, v9
	v_fma_f32 v18, -v10, v14, 1.0
	v_fma_f32 v19, -v13, v15, 1.0
	v_fmac_f32_e32 v14, v18, v14
	v_div_scale_f32 v16, s[8:9], v3, v7, v3
	v_fmac_f32_e32 v15, v19, v15
	v_mul_f32_e32 v18, v12, v14
	v_mul_f32_e32 v19, v16, v15
	v_fma_f32 v20, -v10, v18, v12
	v_fma_f32 v21, -v13, v19, v16
	v_fmac_f32_e32 v18, v20, v14
	v_fmac_f32_e32 v19, v21, v15
	v_fma_f32 v10, -v10, v18, v12
	v_fma_f32 v12, -v13, v19, v16
	v_div_fmas_f32 v10, v10, v14, v18
	s_mov_b64 vcc, s[8:9]
	v_div_fixup_f32 v9, v10, v7, v9
	v_div_fmas_f32 v10, v12, v15, v19
	v_div_fixup_f32 v7, v10, v7, v3
	s_waitcnt vmcnt(0)
	v_sub_f32_e32 v17, v11, v0
	v_mul_f32_e32 v10, v8, v7
	v_fma_f32 v10, v9, v17, -v10
	v_cmp_eq_f32_e32 vcc, 0, v9
	v_sub_f32_e32 v11, v11, v10
	v_add_f32_e32 v8, v8, v11
	global_store_dword v4, v8, s[48:49]
	s_cbranch_vccnz .LBB3_67
; %bb.66:                               ;   in Loop: Header=BB3_55 Depth=2
	v_mul_f32_e32 v3, v10, v10
	v_div_scale_f32 v8, s[8:9], v9, v9, v3
	v_rcp_f32_e32 v11, v8
	v_div_scale_f32 v12, vcc, v3, v9, v3
	v_fma_f32 v13, -v8, v11, 1.0
	v_fmac_f32_e32 v11, v13, v11
	v_mul_f32_e32 v13, v12, v11
	v_fma_f32 v14, -v8, v13, v12
	v_fmac_f32_e32 v13, v14, v11
	v_fma_f32 v8, -v8, v13, v12
	v_div_fmas_f32 v8, v8, v11, v13
	v_div_fixup_f32 v3, v8, v9, v3
.LBB3_67:                               ;   in Loop: Header=BB3_55 Depth=2
	s_add_i32 s8, s40, -1
	s_cmp_le_i32 s8, s16
	s_cbranch_scc1 .LBB3_79
; %bb.68:                               ;   in Loop: Header=BB3_55 Depth=2
	s_add_i32 s8, s40, -2
	s_ashr_i32 s9, s8, 31
	s_lshl_b64 s[8:9], s[8:9], 2
	s_add_u32 s50, s67, s8
	s_addc_u32 s51, s68, s9
	s_add_u32 s8, s69, s8
	s_addc_u32 s9, s70, s9
	s_mov_b32 s41, -1
.LBB3_69:                               ;   Parent Loop BB3_4 Depth=1
                                        ;     Parent Loop BB3_55 Depth=2
                                        ; =>    This Inner Loop Header: Depth=3
	global_load_dword v11, v4, s[8:9] offset:-4
	s_add_u32 s48, s8, -4
	s_addc_u32 s49, s9, -1
	s_cmp_eq_u32 s41, 0
	s_waitcnt vmcnt(0)
	v_add_f32_e32 v8, v3, v11
	s_cbranch_scc1 .LBB3_71
; %bb.70:                               ;   in Loop: Header=BB3_69 Depth=3
	v_mul_f32_e32 v7, v7, v8
	global_store_dword v4, v7, s[8:9]
.LBB3_71:                               ;   in Loop: Header=BB3_69 Depth=3
	global_load_dword v13, v4, s[50:51] offset:-4
	v_div_scale_f32 v7, s[8:9], v8, v8, v3
	v_div_scale_f32 v14, s[8:9], v8, v8, v11
	v_rcp_f32_e32 v16, v7
	v_rcp_f32_e32 v17, v14
	v_div_scale_f32 v12, vcc, v3, v8, v3
	v_fma_f32 v18, -v7, v16, 1.0
	v_fma_f32 v19, -v14, v17, 1.0
	v_fmac_f32_e32 v16, v18, v16
	v_div_scale_f32 v15, s[8:9], v11, v8, v11
	v_fmac_f32_e32 v17, v19, v17
	v_mul_f32_e32 v18, v12, v16
	v_mul_f32_e32 v19, v15, v17
	v_fma_f32 v20, -v7, v18, v12
	v_fma_f32 v21, -v14, v19, v15
	v_fmac_f32_e32 v18, v20, v16
	v_fmac_f32_e32 v19, v21, v17
	v_fma_f32 v7, -v7, v18, v12
	v_fma_f32 v14, -v14, v19, v15
	v_div_fmas_f32 v7, v7, v16, v18
	s_mov_b64 vcc, s[8:9]
	v_div_fixup_f32 v12, v7, v8, v3
	v_div_fmas_f32 v3, v14, v17, v19
	v_div_fixup_f32 v7, v3, v8, v11
	v_mul_f32_e32 v3, v10, v7
	s_add_u32 s52, s50, -4
	v_cmp_eq_f32_e32 vcc, 0, v12
	s_addc_u32 s53, s51, -1
	s_and_b64 vcc, exec, vcc
	s_waitcnt vmcnt(0)
	v_sub_f32_e32 v8, v13, v0
	v_fma_f32 v8, v12, v8, -v3
	v_sub_f32_e32 v3, v13, v8
	v_add_f32_e32 v3, v10, v3
	global_store_dword v4, v3, s[50:51]
	s_cbranch_vccz .LBB3_76
; %bb.72:                               ;   in Loop: Header=BB3_69 Depth=3
	v_mul_f32_e32 v3, v9, v11
	s_cbranch_execnz .LBB3_74
.LBB3_73:                               ;   in Loop: Header=BB3_69 Depth=3
	v_mul_f32_e32 v3, v8, v8
	v_div_scale_f32 v9, s[8:9], v12, v12, v3
	v_rcp_f32_e32 v10, v9
	v_div_scale_f32 v11, vcc, v3, v12, v3
	v_fma_f32 v13, -v9, v10, 1.0
	v_fmac_f32_e32 v10, v13, v10
	v_mul_f32_e32 v13, v11, v10
	v_fma_f32 v14, -v9, v13, v11
	v_fmac_f32_e32 v13, v14, v10
	v_fma_f32 v9, -v9, v13, v11
	v_div_fmas_f32 v9, v9, v10, v13
	v_div_fixup_f32 v3, v9, v12, v3
.LBB3_74:                               ;   in Loop: Header=BB3_69 Depth=3
	s_add_i32 s41, s41, -1
	s_add_i32 s8, s40, s41
	s_cmp_le_i32 s8, s16
	s_cbranch_scc1 .LBB3_80
; %bb.75:                               ;   in Loop: Header=BB3_69 Depth=3
	s_mov_b64 s[8:9], s[48:49]
	s_mov_b64 s[50:51], s[52:53]
	v_mov_b32_e32 v9, v12
	v_mov_b32_e32 v10, v8
	s_branch .LBB3_69
.LBB3_76:                               ;   in Loop: Header=BB3_69 Depth=3
                                        ; implicit-def: $vgpr3
	s_branch .LBB3_73
.LBB3_77:                               ;   in Loop: Header=BB3_55 Depth=2
                                        ; implicit-def: $sgpr41
	s_cbranch_execz .LBB3_54
	s_branch .LBB3_101
.LBB3_78:                               ;   in Loop: Header=BB3_55 Depth=2
	s_mov_b64 s[8:9], 0
                                        ; implicit-def: $sgpr41
                                        ; implicit-def: $sgpr46
                                        ; implicit-def: $sgpr48
	s_cbranch_execnz .LBB3_83
	s_branch .LBB3_100
.LBB3_79:                               ;   in Loop: Header=BB3_55 Depth=2
	v_mov_b32_e32 v8, v10
.LBB3_80:                               ;   in Loop: Header=BB3_55 Depth=2
	v_mov_b32_e32 v9, v3
.LBB3_81:                               ;   in Loop: Header=BB3_55 Depth=2
	v_mul_f32_e32 v3, v7, v9
	v_add_f32_e32 v0, v0, v8
	s_add_i32 s48, s35, 1
	global_store_dword v4, v3, s[46:47]
	global_store_dword v4, v0, s[38:39]
	s_mov_b64 s[8:9], -1
.LBB3_82:                               ;   in Loop: Header=BB3_55 Depth=2
	s_mov_b32 s41, s20
	s_mov_b32 s46, s16
	s_and_b64 vcc, exec, s[44:45]
	s_cbranch_vccz .LBB3_100
.LBB3_83:                               ;   in Loop: Header=BB3_55 Depth=2
	s_add_u32 s42, s14, s42
	s_addc_u32 s43, s15, s43
	global_load_dword v0, v4, s[42:43]
	s_mov_b32 s41, s17
	s_lshl_b64 s[8:9], s[40:41], 2
	s_add_u32 s40, s54, s8
	s_addc_u32 s41, s55, s9
	global_load_dword v3, v4, s[40:41]
	s_waitcnt vmcnt(1)
	v_mul_f32_e32 v7, 0x4f800000, v0
	v_cmp_gt_f32_e32 vcc, s71, v0
	v_cndmask_b32_e32 v0, v0, v7, vcc
	v_sqrt_f32_e32 v7, v0
	s_waitcnt vmcnt(0)
	v_sub_f32_e32 v8, v2, v3
	v_add_u32_e32 v9, -1, v7
	v_add_u32_e32 v10, 1, v7
	v_fma_f32 v11, -v9, v7, v0
	v_fma_f32 v12, -v10, v7, v0
	v_cmp_ge_f32_e64 s[8:9], 0, v11
	v_cndmask_b32_e64 v7, v7, v9, s[8:9]
	v_cmp_lt_f32_e64 s[8:9], 0, v12
	v_cndmask_b32_e64 v7, v7, v10, s[8:9]
	v_mul_f32_e32 v9, 0x37800000, v7
	v_cndmask_b32_e32 v7, v7, v9, vcc
	v_cmp_class_f32_e32 vcc, v0, v5
	v_cndmask_b32_e32 v7, v7, v0, vcc
	v_add_f32_e32 v9, v7, v7
	v_cmp_ngt_f32_e64 s[8:9], |v8|, |v9|
	v_and_b32_e32 v10, 0x7fffffff, v9
	s_and_b64 vcc, exec, s[8:9]
	s_cbranch_vccz .LBB3_86
; %bb.84:                               ;   in Loop: Header=BB3_55 Depth=2
	v_cmp_nlt_f32_e64 s[8:9], |v8|, |v9|
	s_and_b64 vcc, exec, s[8:9]
	s_cbranch_vccz .LBB3_87
; %bb.85:                               ;   in Loop: Header=BB3_55 Depth=2
	v_cvt_f64_f32_e32 v[12:13], v10
	v_mul_f64 v[12:13], v[12:13], s[18:19]
	v_cvt_f32_f64_e32 v0, v[12:13]
	s_cbranch_execz .LBB3_88
	s_branch .LBB3_89
.LBB3_86:                               ;   in Loop: Header=BB3_55 Depth=2
                                        ; implicit-def: $vgpr0
	s_branch .LBB3_90
.LBB3_87:                               ;   in Loop: Header=BB3_55 Depth=2
                                        ; implicit-def: $vgpr0
.LBB3_88:                               ;   in Loop: Header=BB3_55 Depth=2
	v_and_b32_e32 v0, 0x7fffffff, v8
	v_div_scale_f32 v11, s[8:9], v10, v10, v0
	v_rcp_f32_e32 v12, v11
	v_div_scale_f32 v0, vcc, v0, v10, v0
	v_fma_f32 v13, -v11, v12, 1.0
	v_fmac_f32_e32 v12, v13, v12
	v_mul_f32_e32 v13, v0, v12
	v_fma_f32 v14, -v11, v13, v0
	v_fmac_f32_e32 v13, v14, v12
	v_fma_f32 v0, -v11, v13, v0
	v_div_fmas_f32 v0, v0, v12, v13
	v_div_fixup_f32 v0, v0, |v9|, |v8|
	v_fma_f32 v0, v0, v0, 1.0
	v_mul_f32_e32 v11, 0x4f800000, v0
	v_cmp_gt_f32_e32 vcc, s71, v0
	v_cndmask_b32_e32 v0, v0, v11, vcc
	v_sqrt_f32_e32 v11, v0
	v_add_u32_e32 v12, -1, v11
	v_fma_f32 v13, -v12, v11, v0
	v_cmp_ge_f32_e64 s[8:9], 0, v13
	v_add_u32_e32 v13, 1, v11
	v_cndmask_b32_e64 v12, v11, v12, s[8:9]
	v_fma_f32 v11, -v13, v11, v0
	v_cmp_lt_f32_e64 s[8:9], 0, v11
	v_cndmask_b32_e64 v11, v12, v13, s[8:9]
	v_mul_f32_e32 v12, 0x37800000, v11
	v_cndmask_b32_e32 v11, v11, v12, vcc
	v_cmp_class_f32_e32 vcc, v0, v5
	v_cndmask_b32_e32 v0, v11, v0, vcc
	v_mul_f32_e64 v0, |v9|, v0
.LBB3_89:                               ;   in Loop: Header=BB3_55 Depth=2
	s_cbranch_execnz .LBB3_91
.LBB3_90:                               ;   in Loop: Header=BB3_55 Depth=2
	v_and_b32_e32 v0, 0x7fffffff, v8
	v_div_scale_f32 v11, s[8:9], v0, v0, v10
	v_rcp_f32_e32 v12, v11
	v_div_scale_f32 v0, vcc, v10, v0, v10
	v_fma_f32 v10, -v11, v12, 1.0
	v_fmac_f32_e32 v12, v10, v12
	v_mul_f32_e32 v10, v0, v12
	v_fma_f32 v13, -v11, v10, v0
	v_fmac_f32_e32 v10, v13, v12
	v_fma_f32 v0, -v11, v10, v0
	v_div_fmas_f32 v0, v0, v12, v10
	v_div_fixup_f32 v0, v0, |v8|, |v9|
	v_fma_f32 v0, v0, v0, 1.0
	v_mul_f32_e32 v9, 0x4f800000, v0
	v_cmp_gt_f32_e32 vcc, s71, v0
	v_cndmask_b32_e32 v0, v0, v9, vcc
	v_sqrt_f32_e32 v9, v0
	v_add_u32_e32 v10, -1, v9
	v_fma_f32 v11, -v10, v9, v0
	v_cmp_ge_f32_e64 s[8:9], 0, v11
	v_add_u32_e32 v11, 1, v9
	v_cndmask_b32_e64 v10, v9, v10, s[8:9]
	v_fma_f32 v9, -v11, v9, v0
	v_cmp_lt_f32_e64 s[8:9], 0, v9
	v_cndmask_b32_e64 v9, v10, v11, s[8:9]
	v_mul_f32_e32 v10, 0x37800000, v9
	v_cndmask_b32_e32 v9, v9, v10, vcc
	v_cmp_class_f32_e32 vcc, v0, v5
	v_cndmask_b32_e32 v0, v9, v0, vcc
	v_mul_f32_e64 v0, |v8|, v0
.LBB3_91:                               ;   in Loop: Header=BB3_55 Depth=2
	v_add_f32_e32 v9, v2, v3
	v_cmp_gt_f32_e64 vcc, |v2|, |v3|
	v_cndmask_b32_e32 v8, v2, v3, vcc
	v_cndmask_b32_e32 v10, v3, v2, vcc
	v_cmp_ngt_f32_e32 vcc, 0, v9
	s_cbranch_vccz .LBB3_94
; %bb.92:                               ;   in Loop: Header=BB3_55 Depth=2
	v_cmp_nlt_f32_e32 vcc, 0, v9
	s_cbranch_vccz .LBB3_95
; %bb.93:                               ;   in Loop: Header=BB3_55 Depth=2
	v_pk_mul_f32 v[2:3], v[0:1], s[24:25] op_sel_hi:[0,1]
	s_cbranch_execz .LBB3_96
	s_branch .LBB3_97
.LBB3_94:                               ;   in Loop: Header=BB3_55 Depth=2
                                        ; implicit-def: $vgpr3
	s_branch .LBB3_98
.LBB3_95:                               ;   in Loop: Header=BB3_55 Depth=2
                                        ; implicit-def: $vgpr3
.LBB3_96:                               ;   in Loop: Header=BB3_55 Depth=2
	v_add_f32_e32 v2, v9, v0
	v_mul_f32_e32 v2, 0.5, v2
	v_cvt_f64_f32_e32 v[12:13], v10
	v_cvt_f64_f32_e32 v[14:15], v2
	v_div_scale_f64 v[16:17], s[8:9], v[14:15], v[14:15], v[12:13]
	v_rcp_f64_e32 v[18:19], v[16:17]
	v_fma_f64 v[20:21], -v[16:17], v[18:19], 1.0
	v_fmac_f64_e32 v[18:19], v[18:19], v[20:21]
	v_fma_f64 v[20:21], -v[16:17], v[18:19], 1.0
	v_fmac_f64_e32 v[18:19], v[18:19], v[20:21]
	v_div_scale_f64 v[20:21], vcc, v[12:13], v[14:15], v[12:13]
	v_mul_f64 v[22:23], v[20:21], v[18:19]
	v_fma_f64 v[16:17], -v[16:17], v[22:23], v[20:21]
	v_cvt_f64_f32_e32 v[20:21], v7
	v_div_scale_f64 v[24:25], s[8:9], v[14:15], v[14:15], v[20:21]
	v_rcp_f64_e32 v[26:27], v[24:25]
	v_div_fmas_f64 v[16:17], v[16:17], v[18:19], v[22:23]
	v_div_fixup_f64 v[12:13], v[16:17], v[14:15], v[12:13]
	v_cvt_f64_f32_e32 v[16:17], v8
	v_fma_f64 v[18:19], -v[24:25], v[26:27], 1.0
	v_fmac_f64_e32 v[26:27], v[26:27], v[18:19]
	v_fma_f64 v[18:19], -v[24:25], v[26:27], 1.0
	v_fmac_f64_e32 v[26:27], v[26:27], v[18:19]
	v_div_scale_f64 v[18:19], vcc, v[20:21], v[14:15], v[20:21]
	v_mul_f64 v[22:23], v[18:19], v[26:27]
	v_fma_f64 v[18:19], -v[24:25], v[22:23], v[18:19]
	s_nop 1
	v_div_fmas_f64 v[18:19], v[18:19], v[26:27], v[22:23]
	v_div_fixup_f64 v[14:15], v[18:19], v[14:15], v[20:21]
	v_mul_f64 v[14:15], v[14:15], v[20:21]
	v_fma_f64 v[12:13], v[12:13], v[16:17], -v[14:15]
	v_cvt_f32_f64_e32 v3, v[12:13]
.LBB3_97:                               ;   in Loop: Header=BB3_55 Depth=2
	s_cbranch_execnz .LBB3_99
.LBB3_98:                               ;   in Loop: Header=BB3_55 Depth=2
	v_sub_f32_e32 v0, v9, v0
	v_mul_f32_e32 v2, 0.5, v0
	v_cvt_f64_f32_e32 v[10:11], v10
	v_cvt_f64_f32_e32 v[12:13], v2
	v_div_scale_f64 v[14:15], s[8:9], v[12:13], v[12:13], v[10:11]
	v_rcp_f64_e32 v[16:17], v[14:15]
	v_cvt_f64_f32_e32 v[8:9], v8
	v_fma_f64 v[18:19], -v[14:15], v[16:17], 1.0
	v_fmac_f64_e32 v[16:17], v[16:17], v[18:19]
	v_fma_f64 v[18:19], -v[14:15], v[16:17], 1.0
	v_fmac_f64_e32 v[16:17], v[16:17], v[18:19]
	v_div_scale_f64 v[18:19], vcc, v[10:11], v[12:13], v[10:11]
	v_mul_f64 v[20:21], v[18:19], v[16:17]
	v_fma_f64 v[14:15], -v[14:15], v[20:21], v[18:19]
	v_cvt_f64_f32_e32 v[18:19], v7
	v_div_scale_f64 v[22:23], s[8:9], v[12:13], v[12:13], v[18:19]
	v_rcp_f64_e32 v[24:25], v[22:23]
	v_div_fmas_f64 v[14:15], v[14:15], v[16:17], v[20:21]
	v_div_fixup_f64 v[10:11], v[14:15], v[12:13], v[10:11]
	v_fma_f64 v[14:15], -v[22:23], v[24:25], 1.0
	v_fmac_f64_e32 v[24:25], v[24:25], v[14:15]
	v_fma_f64 v[14:15], -v[22:23], v[24:25], 1.0
	v_fmac_f64_e32 v[24:25], v[24:25], v[14:15]
	v_div_scale_f64 v[14:15], vcc, v[18:19], v[12:13], v[18:19]
	v_mul_f64 v[16:17], v[14:15], v[24:25]
	v_fma_f64 v[14:15], -v[22:23], v[16:17], v[14:15]
	s_nop 1
	v_div_fmas_f64 v[14:15], v[14:15], v[24:25], v[16:17]
	v_div_fixup_f64 v[12:13], v[14:15], v[12:13], v[18:19]
	v_mul_f64 v[12:13], v[12:13], v[18:19]
	v_fma_f64 v[8:9], v[10:11], v[8:9], -v[12:13]
	v_cvt_f32_f64_e32 v3, v[8:9]
.LBB3_99:                               ;   in Loop: Header=BB3_55 Depth=2
	s_add_i32 s46, s16, 2
	s_mov_b64 s[8:9], -1
	s_mov_b32 s48, s35
	global_store_dword v4, v2, s[38:39]
	global_store_dword v4, v3, s[40:41]
	;; [unrolled: 1-line block ×3, first 2 shown]
                                        ; implicit-def: $sgpr41
.LBB3_100:                              ;   in Loop: Header=BB3_55 Depth=2
	s_mov_b32 s35, s48
	s_and_b64 vcc, exec, s[8:9]
	s_cbranch_vccz .LBB3_54
.LBB3_101:                              ;   in Loop: Header=BB3_55 Depth=2
	s_cmp_gt_i32 s46, s75
	s_cselect_b64 s[8:9], -1, 0
	s_cmp_ge_i32 s35, s20
	s_cselect_b64 s[36:37], -1, 0
	s_or_b64 s[36:37], s[8:9], s[36:37]
	s_mov_b32 s41, s35
	s_branch .LBB3_54
.LBB3_102:                              ;   in Loop: Header=BB3_103 Depth=2
	s_andn2_b64 vcc, exec, s[8:9]
	s_mov_b32 s34, s16
	s_cbranch_vccz .LBB3_149
.LBB3_103:                              ;   Parent Loop BB3_4 Depth=1
                                        ; =>  This Loop Header: Depth=2
                                        ;       Child Loop BB3_105 Depth 3
                                        ;       Child Loop BB3_118 Depth 3
	s_ashr_i32 s35, s34, 31
	s_min_i32 s38, s75, s34
	s_lshl_b64 s[2:3], s[34:35], 2
	s_add_u32 s36, s65, s2
	s_addc_u32 s37, s66, s3
	s_add_u32 s8, s69, s2
	s_addc_u32 s9, s70, s3
	s_mov_b32 s35, s34
	s_branch .LBB3_105
.LBB3_104:                              ;   in Loop: Header=BB3_105 Depth=3
	s_andn2_b64 vcc, exec, s[42:43]
	s_cbranch_vccz .LBB3_107
.LBB3_105:                              ;   Parent Loop BB3_4 Depth=1
                                        ;     Parent Loop BB3_103 Depth=2
                                        ; =>    This Inner Loop Header: Depth=3
	s_mov_b64 s[40:41], -1
	s_mov_b32 s16, s35
	s_cmp_le_i32 s35, s75
	s_mov_b64 s[42:43], -1
                                        ; implicit-def: $sgpr35
	s_cbranch_scc1 .LBB3_104
; %bb.106:                              ;   in Loop: Header=BB3_105 Depth=3
	global_load_dwordx2 v[2:3], v4, s[36:37] offset:-4
	global_load_dword v0, v4, s[8:9] offset:-8
	s_add_i32 s35, s16, -1
	s_add_u32 s36, s36, -4
	s_addc_u32 s37, s37, -1
	s_add_u32 s8, s8, -4
	s_mov_b64 s[40:41], 0
	s_addc_u32 s9, s9, -1
	s_waitcnt vmcnt(1)
	v_mul_f32_e32 v2, v3, v2
	v_mul_f32_e64 v2, v1, |v2|
	s_waitcnt vmcnt(0)
	v_cmp_le_f32_e64 s[42:43], |v0|, v2
	s_branch .LBB3_104
.LBB3_107:                              ;   in Loop: Header=BB3_103 Depth=2
	s_andn2_b64 vcc, exec, s[40:41]
	s_cbranch_vccz .LBB3_109
; %bb.108:                              ;   in Loop: Header=BB3_103 Depth=2
	s_mov_b32 s38, s16
	global_store_dword v4, v4, s[8:9] offset:-4
.LBB3_109:                              ;   in Loop: Header=BB3_103 Depth=2
	s_add_i32 s16, s34, -1
	s_cmp_eq_u32 s38, s34
	s_mov_b64 s[8:9], -1
	s_cbranch_scc1 .LBB3_124
; %bb.110:                              ;   in Loop: Header=BB3_103 Depth=2
	s_add_u32 s36, s54, s2
	s_addc_u32 s37, s55, s3
	global_load_dword v2, v4, s[36:37]
	s_cmp_lg_u32 s38, s16
	s_cbranch_scc0 .LBB3_125
; %bb.111:                              ;   in Loop: Header=BB3_103 Depth=2
	s_mov_b64 s[40:41], 0
	s_cmp_lg_u32 s74, s20
	s_mov_b64 s[42:43], 0
                                        ; implicit-def: $sgpr35
	s_cbranch_scc0 .LBB3_129
; %bb.112:                              ;   in Loop: Header=BB3_103 Depth=2
	s_add_u32 s42, s57, s2
	s_addc_u32 s43, s58, s3
	global_load_dword v0, v4, s[42:43]
	s_ashr_i32 s39, s38, 31
	s_lshl_b64 s[46:47], s[38:39], 2
	s_add_u32 s44, s54, s46
	s_addc_u32 s45, s55, s47
	global_load_dword v3, v4, s[44:45]
	global_load_dword v7, v4, s[36:37] offset:-4
	s_cmp_ge_i32 s38, s34
	s_waitcnt vmcnt(2)
	v_mul_f32_e32 v8, 0x4f800000, v0
	v_cmp_gt_f32_e32 vcc, s71, v0
	v_cndmask_b32_e32 v0, v0, v8, vcc
	v_sqrt_f32_e32 v8, v0
	s_waitcnt vmcnt(0)
	v_sub_f32_e32 v7, v7, v2
	v_add_u32_e32 v9, -1, v8
	v_add_u32_e32 v10, 1, v8
	v_fma_f32 v11, -v9, v8, v0
	v_fma_f32 v12, -v10, v8, v0
	v_cmp_ge_f32_e64 s[2:3], 0, v11
	v_cndmask_b32_e64 v8, v8, v9, s[2:3]
	v_cmp_lt_f32_e64 s[2:3], 0, v12
	v_cndmask_b32_e64 v8, v8, v10, s[2:3]
	v_mul_f32_e32 v9, 0x37800000, v8
	v_cndmask_b32_e32 v8, v8, v9, vcc
	v_cmp_class_f32_e32 vcc, v0, v5
	v_cndmask_b32_e32 v0, v8, v0, vcc
	v_add_f32_e32 v8, v0, v0
	v_div_scale_f32 v9, s[2:3], v8, v8, v7
	v_rcp_f32_e32 v10, v9
	v_div_scale_f32 v11, vcc, v7, v8, v7
	v_fma_f32 v12, -v9, v10, 1.0
	v_fmac_f32_e32 v10, v12, v10
	v_mul_f32_e32 v12, v11, v10
	v_fma_f32 v13, -v9, v12, v11
	v_fmac_f32_e32 v12, v13, v10
	v_fma_f32 v9, -v9, v12, v11
	v_div_fmas_f32 v9, v9, v10, v12
	v_div_fixup_f32 v7, v9, v8, v7
	v_fma_f32 v8, v7, v7, 1.0
	v_mul_f32_e32 v9, 0x4f800000, v8
	v_cmp_gt_f32_e32 vcc, s71, v8
	v_cndmask_b32_e32 v8, v8, v9, vcc
	v_sqrt_f32_e32 v9, v8
	v_add_u32_e32 v10, -1, v9
	v_add_u32_e32 v11, 1, v9
	v_fma_f32 v12, -v10, v9, v8
	v_fma_f32 v13, -v11, v9, v8
	v_cmp_ge_f32_e64 s[2:3], 0, v12
	v_cndmask_b32_e64 v9, v9, v10, s[2:3]
	v_cmp_lt_f32_e64 s[2:3], 0, v13
	v_cndmask_b32_e64 v9, v9, v11, s[2:3]
	v_mul_f32_e32 v10, 0x37800000, v9
	v_cndmask_b32_e32 v9, v9, v10, vcc
	v_cmp_class_f32_e32 vcc, v8, v5
	v_cndmask_b32_e32 v8, v9, v8, vcc
	v_cmp_nle_f32_e32 vcc, 0, v7
	v_cndmask_b32_e64 v8, |v8|, -|v8|, vcc
	v_add_f32_e32 v7, v7, v8
	v_div_scale_f32 v8, s[2:3], v7, v7, v0
	v_rcp_f32_e32 v9, v8
	v_div_scale_f32 v10, vcc, v0, v7, v0
	v_fma_f32 v11, -v8, v9, 1.0
	v_fmac_f32_e32 v9, v11, v9
	v_mul_f32_e32 v11, v10, v9
	v_fma_f32 v12, -v8, v11, v10
	v_fmac_f32_e32 v11, v12, v9
	v_fma_f32 v8, -v8, v11, v10
	v_div_fmas_f32 v8, v8, v9, v11
	v_div_fixup_f32 v0, v8, v7, v0
	v_sub_f32_e32 v0, v2, v0
	v_sub_f32_e32 v8, v3, v0
	v_mul_f32_e32 v9, v8, v8
	v_mov_b32_e32 v7, 0
	s_cbranch_scc1 .LBB3_128
; %bb.113:                              ;   in Loop: Header=BB3_103 Depth=2
	s_add_u32 s2, s14, s46
	s_addc_u32 s3, s15, s47
	global_load_dword v3, v4, s[2:3]
	global_load_dword v11, v4, s[44:45] offset:4
	s_waitcnt vmcnt(1)
	v_add_f32_e32 v7, v9, v3
	v_div_scale_f32 v12, s[2:3], v7, v7, v9
	v_div_scale_f32 v14, s[2:3], v7, v7, v3
	v_rcp_f32_e32 v15, v12
	v_rcp_f32_e32 v16, v14
	v_div_scale_f32 v13, vcc, v9, v7, v9
	v_fma_f32 v18, -v12, v15, 1.0
	v_fma_f32 v19, -v14, v16, 1.0
	v_fmac_f32_e32 v15, v18, v15
	v_div_scale_f32 v17, s[2:3], v3, v7, v3
	v_fmac_f32_e32 v16, v19, v16
	v_mul_f32_e32 v18, v13, v15
	v_mul_f32_e32 v19, v17, v16
	v_fma_f32 v20, -v12, v18, v13
	v_fma_f32 v21, -v14, v19, v17
	v_fmac_f32_e32 v18, v20, v15
	v_fmac_f32_e32 v19, v21, v16
	v_fma_f32 v12, -v12, v18, v13
	v_fma_f32 v13, -v14, v19, v17
	v_div_fmas_f32 v12, v12, v15, v18
	s_mov_b64 vcc, s[2:3]
	v_div_fixup_f32 v9, v12, v7, v9
	v_div_fmas_f32 v12, v13, v16, v19
	v_div_fixup_f32 v7, v12, v7, v3
	s_waitcnt vmcnt(0)
	v_sub_f32_e32 v10, v11, v0
	v_mul_f32_e32 v12, v8, v7
	v_fma_f32 v10, v9, v10, -v12
	v_cmp_eq_f32_e32 vcc, 0, v9
	v_sub_f32_e32 v11, v11, v10
	v_add_f32_e32 v8, v8, v11
	global_store_dword v4, v8, s[44:45]
	s_cbranch_vccnz .LBB3_115
; %bb.114:                              ;   in Loop: Header=BB3_103 Depth=2
	v_mul_f32_e32 v3, v10, v10
	v_div_scale_f32 v8, s[2:3], v9, v9, v3
	v_rcp_f32_e32 v11, v8
	v_div_scale_f32 v12, vcc, v3, v9, v3
	v_fma_f32 v13, -v8, v11, 1.0
	v_fmac_f32_e32 v11, v13, v11
	v_mul_f32_e32 v13, v12, v11
	v_fma_f32 v14, -v8, v13, v12
	v_fmac_f32_e32 v13, v14, v11
	v_fma_f32 v8, -v8, v13, v12
	v_div_fmas_f32 v8, v8, v11, v13
	v_div_fixup_f32 v3, v8, v9, v3
.LBB3_115:                              ;   in Loop: Header=BB3_103 Depth=2
	s_add_i32 s2, s38, 1
	s_cmp_ge_i32 s2, s34
	s_cbranch_scc1 .LBB3_126
; %bb.116:                              ;   in Loop: Header=BB3_103 Depth=2
	s_ashr_i32 s3, s2, 31
	s_lshl_b64 s[2:3], s[2:3], 2
	s_add_u32 s44, s61, s2
	s_addc_u32 s45, s62, s3
	s_add_u32 s46, s67, s2
	s_addc_u32 s47, s68, s3
	s_mov_b32 s16, 1
	global_load_dword v11, v4, s[44:45]
	s_cmp_eq_u32 s16, 0
	s_waitcnt vmcnt(0)
	v_add_f32_e32 v8, v3, v11
	s_cbranch_scc1 .LBB3_118
.LBB3_117:                              ;   in Loop: Header=BB3_103 Depth=2
	v_mul_f32_e32 v7, v7, v8
	global_store_dword v4, v7, s[44:45] offset:-4
.LBB3_118:                              ;   Parent Loop BB3_4 Depth=1
                                        ;     Parent Loop BB3_103 Depth=2
                                        ; =>    This Inner Loop Header: Depth=3
	global_load_dword v13, v4, s[46:47]
	v_div_scale_f32 v7, s[2:3], v8, v8, v3
	v_div_scale_f32 v14, s[2:3], v8, v8, v11
	v_rcp_f32_e32 v15, v7
	v_rcp_f32_e32 v16, v14
	v_div_scale_f32 v12, vcc, v3, v8, v3
	v_fma_f32 v18, -v7, v15, 1.0
	v_fma_f32 v19, -v14, v16, 1.0
	v_fmac_f32_e32 v15, v18, v15
	v_div_scale_f32 v17, s[2:3], v11, v8, v11
	v_fmac_f32_e32 v16, v19, v16
	v_mul_f32_e32 v18, v12, v15
	v_mul_f32_e32 v19, v17, v16
	v_fma_f32 v20, -v7, v18, v12
	v_fma_f32 v21, -v14, v19, v17
	v_fmac_f32_e32 v18, v20, v15
	v_fmac_f32_e32 v19, v21, v16
	v_fma_f32 v7, -v7, v18, v12
	v_fma_f32 v14, -v14, v19, v17
	v_div_fmas_f32 v7, v7, v15, v18
	s_mov_b64 vcc, s[2:3]
	v_div_fixup_f32 v12, v7, v8, v3
	v_div_fmas_f32 v3, v14, v16, v19
	v_div_fixup_f32 v7, v3, v8, v11
	v_mul_f32_e32 v3, v10, v7
	v_cmp_eq_f32_e32 vcc, 0, v12
	s_and_b64 vcc, exec, vcc
	s_waitcnt vmcnt(0)
	v_sub_f32_e32 v8, v13, v0
	v_fma_f32 v8, v12, v8, -v3
	v_sub_f32_e32 v3, v13, v8
	v_add_f32_e32 v3, v10, v3
	global_store_dword v4, v3, s[46:47] offset:-4
	s_cbranch_vccz .LBB3_123
; %bb.119:                              ;   in Loop: Header=BB3_118 Depth=3
	v_mul_f32_e32 v3, v9, v11
	s_cbranch_execnz .LBB3_121
.LBB3_120:                              ;   in Loop: Header=BB3_118 Depth=3
	v_mul_f32_e32 v3, v8, v8
	v_div_scale_f32 v9, s[2:3], v12, v12, v3
	v_rcp_f32_e32 v10, v9
	v_div_scale_f32 v11, vcc, v3, v12, v3
	v_fma_f32 v13, -v9, v10, 1.0
	v_fmac_f32_e32 v10, v13, v10
	v_mul_f32_e32 v13, v11, v10
	v_fma_f32 v14, -v9, v13, v11
	v_fmac_f32_e32 v13, v14, v10
	v_fma_f32 v9, -v9, v13, v11
	v_div_fmas_f32 v9, v9, v10, v13
	v_div_fixup_f32 v3, v9, v12, v3
.LBB3_121:                              ;   in Loop: Header=BB3_118 Depth=3
	s_add_i32 s16, s16, 1
	s_add_i32 s2, s38, s16
	s_add_u32 s44, s44, 4
	s_addc_u32 s45, s45, 0
	s_add_u32 s46, s46, 4
	s_addc_u32 s47, s47, 0
	s_cmp_ge_i32 s2, s34
	s_cbranch_scc1 .LBB3_127
; %bb.122:                              ;   in Loop: Header=BB3_118 Depth=3
	v_mov_b32_e32 v9, v12
	v_mov_b32_e32 v10, v8
	global_load_dword v11, v4, s[44:45]
	s_cmp_eq_u32 s16, 0
	s_waitcnt vmcnt(0)
	v_add_f32_e32 v8, v3, v11
	s_cbranch_scc0 .LBB3_117
	s_branch .LBB3_118
.LBB3_123:                              ;   in Loop: Header=BB3_118 Depth=3
                                        ; implicit-def: $vgpr3
	s_branch .LBB3_120
.LBB3_124:                              ;   in Loop: Header=BB3_103 Depth=2
                                        ; implicit-def: $sgpr2
	s_cbranch_execz .LBB3_102
	s_branch .LBB3_148
.LBB3_125:                              ;   in Loop: Header=BB3_103 Depth=2
	s_mov_b64 s[42:43], 0
                                        ; implicit-def: $sgpr2
                                        ; implicit-def: $sgpr16
                                        ; implicit-def: $sgpr35
	s_cbranch_execnz .LBB3_130
	s_branch .LBB3_147
.LBB3_126:                              ;   in Loop: Header=BB3_103 Depth=2
	v_mov_b32_e32 v8, v10
.LBB3_127:                              ;   in Loop: Header=BB3_103 Depth=2
	v_mov_b32_e32 v9, v3
.LBB3_128:                              ;   in Loop: Header=BB3_103 Depth=2
	v_mul_f32_e32 v3, v9, v7
	v_add_f32_e32 v0, v0, v8
	s_add_i32 s35, s74, 1
	global_store_dword v4, v3, s[42:43]
	global_store_dword v4, v0, s[36:37]
	s_mov_b64 s[42:43], -1
.LBB3_129:                              ;   in Loop: Header=BB3_103 Depth=2
	s_mov_b32 s2, s20
	s_mov_b32 s16, s34
	s_and_b64 vcc, exec, s[40:41]
	s_cbranch_vccz .LBB3_147
.LBB3_130:                              ;   in Loop: Header=BB3_103 Depth=2
	s_ashr_i32 s39, s38, 31
	s_lshl_b64 s[2:3], s[38:39], 2
	s_add_u32 s38, s14, s2
	s_addc_u32 s39, s15, s3
	global_load_dword v0, v4, s[38:39]
	s_add_u32 s40, s54, s2
	s_addc_u32 s41, s55, s3
	global_load_dword v3, v4, s[40:41]
	s_waitcnt vmcnt(1)
	v_mul_f32_e32 v7, 0x4f800000, v0
	v_cmp_gt_f32_e32 vcc, s71, v0
	v_cndmask_b32_e32 v0, v0, v7, vcc
	v_sqrt_f32_e32 v7, v0
	s_waitcnt vmcnt(0)
	v_sub_f32_e32 v8, v2, v3
	v_add_u32_e32 v9, -1, v7
	v_add_u32_e32 v10, 1, v7
	v_fma_f32 v11, -v9, v7, v0
	v_fma_f32 v12, -v10, v7, v0
	v_cmp_ge_f32_e64 s[2:3], 0, v11
	v_cndmask_b32_e64 v7, v7, v9, s[2:3]
	v_cmp_lt_f32_e64 s[2:3], 0, v12
	v_cndmask_b32_e64 v7, v7, v10, s[2:3]
	v_mul_f32_e32 v9, 0x37800000, v7
	v_cndmask_b32_e32 v7, v7, v9, vcc
	v_cmp_class_f32_e32 vcc, v0, v5
	v_cndmask_b32_e32 v7, v7, v0, vcc
	v_add_f32_e32 v9, v7, v7
	v_cmp_ngt_f32_e64 s[2:3], |v8|, |v9|
	v_and_b32_e32 v10, 0x7fffffff, v9
	s_and_b64 vcc, exec, s[2:3]
	s_cbranch_vccz .LBB3_133
; %bb.131:                              ;   in Loop: Header=BB3_103 Depth=2
	v_cmp_nlt_f32_e64 s[2:3], |v8|, |v9|
	s_and_b64 vcc, exec, s[2:3]
	s_cbranch_vccz .LBB3_134
; %bb.132:                              ;   in Loop: Header=BB3_103 Depth=2
	v_cvt_f64_f32_e32 v[12:13], v10
	v_mul_f64 v[12:13], v[12:13], s[18:19]
	v_cvt_f32_f64_e32 v0, v[12:13]
	s_cbranch_execz .LBB3_135
	s_branch .LBB3_136
.LBB3_133:                              ;   in Loop: Header=BB3_103 Depth=2
                                        ; implicit-def: $vgpr0
	s_branch .LBB3_137
.LBB3_134:                              ;   in Loop: Header=BB3_103 Depth=2
                                        ; implicit-def: $vgpr0
.LBB3_135:                              ;   in Loop: Header=BB3_103 Depth=2
	v_and_b32_e32 v0, 0x7fffffff, v8
	v_div_scale_f32 v11, s[2:3], v10, v10, v0
	v_rcp_f32_e32 v12, v11
	v_div_scale_f32 v0, vcc, v0, v10, v0
	v_fma_f32 v13, -v11, v12, 1.0
	v_fmac_f32_e32 v12, v13, v12
	v_mul_f32_e32 v13, v0, v12
	v_fma_f32 v14, -v11, v13, v0
	v_fmac_f32_e32 v13, v14, v12
	v_fma_f32 v0, -v11, v13, v0
	v_div_fmas_f32 v0, v0, v12, v13
	v_div_fixup_f32 v0, v0, |v9|, |v8|
	v_fma_f32 v0, v0, v0, 1.0
	v_mul_f32_e32 v11, 0x4f800000, v0
	v_cmp_gt_f32_e32 vcc, s71, v0
	v_cndmask_b32_e32 v0, v0, v11, vcc
	v_sqrt_f32_e32 v11, v0
	v_add_u32_e32 v12, -1, v11
	v_fma_f32 v13, -v12, v11, v0
	v_cmp_ge_f32_e64 s[2:3], 0, v13
	v_add_u32_e32 v13, 1, v11
	v_cndmask_b32_e64 v12, v11, v12, s[2:3]
	v_fma_f32 v11, -v13, v11, v0
	v_cmp_lt_f32_e64 s[2:3], 0, v11
	v_cndmask_b32_e64 v11, v12, v13, s[2:3]
	v_mul_f32_e32 v12, 0x37800000, v11
	v_cndmask_b32_e32 v11, v11, v12, vcc
	v_cmp_class_f32_e32 vcc, v0, v5
	v_cndmask_b32_e32 v0, v11, v0, vcc
	v_mul_f32_e64 v0, |v9|, v0
.LBB3_136:                              ;   in Loop: Header=BB3_103 Depth=2
	s_cbranch_execnz .LBB3_138
.LBB3_137:                              ;   in Loop: Header=BB3_103 Depth=2
	v_and_b32_e32 v0, 0x7fffffff, v8
	v_div_scale_f32 v11, s[2:3], v0, v0, v10
	v_rcp_f32_e32 v12, v11
	v_div_scale_f32 v0, vcc, v10, v0, v10
	v_fma_f32 v10, -v11, v12, 1.0
	v_fmac_f32_e32 v12, v10, v12
	v_mul_f32_e32 v10, v0, v12
	v_fma_f32 v13, -v11, v10, v0
	v_fmac_f32_e32 v10, v13, v12
	v_fma_f32 v0, -v11, v10, v0
	v_div_fmas_f32 v0, v0, v12, v10
	v_div_fixup_f32 v0, v0, |v8|, |v9|
	v_fma_f32 v0, v0, v0, 1.0
	v_mul_f32_e32 v9, 0x4f800000, v0
	v_cmp_gt_f32_e32 vcc, s71, v0
	v_cndmask_b32_e32 v0, v0, v9, vcc
	v_sqrt_f32_e32 v9, v0
	v_add_u32_e32 v10, -1, v9
	v_fma_f32 v11, -v10, v9, v0
	v_cmp_ge_f32_e64 s[2:3], 0, v11
	v_add_u32_e32 v11, 1, v9
	v_cndmask_b32_e64 v10, v9, v10, s[2:3]
	v_fma_f32 v9, -v11, v9, v0
	v_cmp_lt_f32_e64 s[2:3], 0, v9
	v_cndmask_b32_e64 v9, v10, v11, s[2:3]
	v_mul_f32_e32 v10, 0x37800000, v9
	v_cndmask_b32_e32 v9, v9, v10, vcc
	v_cmp_class_f32_e32 vcc, v0, v5
	v_cndmask_b32_e32 v0, v9, v0, vcc
	v_mul_f32_e64 v0, |v8|, v0
.LBB3_138:                              ;   in Loop: Header=BB3_103 Depth=2
	v_add_f32_e32 v9, v2, v3
	v_cmp_gt_f32_e64 vcc, |v2|, |v3|
	v_cndmask_b32_e32 v8, v2, v3, vcc
	v_cndmask_b32_e32 v10, v3, v2, vcc
	v_cmp_ngt_f32_e32 vcc, 0, v9
	s_cbranch_vccz .LBB3_141
; %bb.139:                              ;   in Loop: Header=BB3_103 Depth=2
	v_cmp_nlt_f32_e32 vcc, 0, v9
	s_cbranch_vccz .LBB3_142
; %bb.140:                              ;   in Loop: Header=BB3_103 Depth=2
	v_pk_mul_f32 v[2:3], v[0:1], s[24:25] op_sel_hi:[0,1]
	s_cbranch_execz .LBB3_143
	s_branch .LBB3_144
.LBB3_141:                              ;   in Loop: Header=BB3_103 Depth=2
                                        ; implicit-def: $vgpr3
	s_branch .LBB3_145
.LBB3_142:                              ;   in Loop: Header=BB3_103 Depth=2
                                        ; implicit-def: $vgpr3
.LBB3_143:                              ;   in Loop: Header=BB3_103 Depth=2
	v_add_f32_e32 v2, v9, v0
	v_mul_f32_e32 v2, 0.5, v2
	v_cvt_f64_f32_e32 v[12:13], v10
	v_cvt_f64_f32_e32 v[14:15], v2
	v_div_scale_f64 v[16:17], s[2:3], v[14:15], v[14:15], v[12:13]
	v_rcp_f64_e32 v[18:19], v[16:17]
	v_fma_f64 v[20:21], -v[16:17], v[18:19], 1.0
	v_fmac_f64_e32 v[18:19], v[18:19], v[20:21]
	v_fma_f64 v[20:21], -v[16:17], v[18:19], 1.0
	v_fmac_f64_e32 v[18:19], v[18:19], v[20:21]
	v_div_scale_f64 v[20:21], vcc, v[12:13], v[14:15], v[12:13]
	v_mul_f64 v[22:23], v[20:21], v[18:19]
	v_fma_f64 v[16:17], -v[16:17], v[22:23], v[20:21]
	v_cvt_f64_f32_e32 v[20:21], v7
	v_div_scale_f64 v[24:25], s[2:3], v[14:15], v[14:15], v[20:21]
	v_rcp_f64_e32 v[26:27], v[24:25]
	v_div_fmas_f64 v[16:17], v[16:17], v[18:19], v[22:23]
	v_div_fixup_f64 v[12:13], v[16:17], v[14:15], v[12:13]
	v_cvt_f64_f32_e32 v[16:17], v8
	v_fma_f64 v[18:19], -v[24:25], v[26:27], 1.0
	v_fmac_f64_e32 v[26:27], v[26:27], v[18:19]
	v_fma_f64 v[18:19], -v[24:25], v[26:27], 1.0
	v_fmac_f64_e32 v[26:27], v[26:27], v[18:19]
	v_div_scale_f64 v[18:19], vcc, v[20:21], v[14:15], v[20:21]
	v_mul_f64 v[22:23], v[18:19], v[26:27]
	v_fma_f64 v[18:19], -v[24:25], v[22:23], v[18:19]
	s_nop 1
	v_div_fmas_f64 v[18:19], v[18:19], v[26:27], v[22:23]
	v_div_fixup_f64 v[14:15], v[18:19], v[14:15], v[20:21]
	v_mul_f64 v[14:15], v[14:15], v[20:21]
	v_fma_f64 v[12:13], v[12:13], v[16:17], -v[14:15]
	v_cvt_f32_f64_e32 v3, v[12:13]
.LBB3_144:                              ;   in Loop: Header=BB3_103 Depth=2
	s_cbranch_execnz .LBB3_146
.LBB3_145:                              ;   in Loop: Header=BB3_103 Depth=2
	v_sub_f32_e32 v0, v9, v0
	v_mul_f32_e32 v2, 0.5, v0
	v_cvt_f64_f32_e32 v[10:11], v10
	v_cvt_f64_f32_e32 v[12:13], v2
	v_div_scale_f64 v[14:15], s[2:3], v[12:13], v[12:13], v[10:11]
	v_rcp_f64_e32 v[16:17], v[14:15]
	v_cvt_f64_f32_e32 v[8:9], v8
	v_fma_f64 v[18:19], -v[14:15], v[16:17], 1.0
	v_fmac_f64_e32 v[16:17], v[16:17], v[18:19]
	v_fma_f64 v[18:19], -v[14:15], v[16:17], 1.0
	v_fmac_f64_e32 v[16:17], v[16:17], v[18:19]
	v_div_scale_f64 v[18:19], vcc, v[10:11], v[12:13], v[10:11]
	v_mul_f64 v[20:21], v[18:19], v[16:17]
	v_fma_f64 v[14:15], -v[14:15], v[20:21], v[18:19]
	v_cvt_f64_f32_e32 v[18:19], v7
	v_div_scale_f64 v[22:23], s[2:3], v[12:13], v[12:13], v[18:19]
	v_rcp_f64_e32 v[24:25], v[22:23]
	v_div_fmas_f64 v[14:15], v[14:15], v[16:17], v[20:21]
	v_div_fixup_f64 v[10:11], v[14:15], v[12:13], v[10:11]
	v_fma_f64 v[14:15], -v[22:23], v[24:25], 1.0
	v_fmac_f64_e32 v[24:25], v[24:25], v[14:15]
	v_fma_f64 v[14:15], -v[22:23], v[24:25], 1.0
	v_fmac_f64_e32 v[24:25], v[24:25], v[14:15]
	v_div_scale_f64 v[14:15], vcc, v[18:19], v[12:13], v[18:19]
	v_mul_f64 v[16:17], v[14:15], v[24:25]
	v_fma_f64 v[14:15], -v[22:23], v[16:17], v[14:15]
	s_nop 1
	v_div_fmas_f64 v[14:15], v[14:15], v[24:25], v[16:17]
	v_div_fixup_f64 v[12:13], v[14:15], v[12:13], v[18:19]
	v_mul_f64 v[12:13], v[12:13], v[18:19]
	v_fma_f64 v[8:9], v[10:11], v[8:9], -v[12:13]
	v_cvt_f32_f64_e32 v3, v[8:9]
.LBB3_146:                              ;   in Loop: Header=BB3_103 Depth=2
	s_add_i32 s16, s34, -2
	s_mov_b64 s[42:43], -1
	s_mov_b32 s35, s74
	global_store_dword v4, v2, s[36:37]
	global_store_dword v4, v3, s[40:41]
	;; [unrolled: 1-line block ×3, first 2 shown]
                                        ; implicit-def: $sgpr2
.LBB3_147:                              ;   in Loop: Header=BB3_103 Depth=2
	s_mov_b32 s74, s35
	s_and_b64 vcc, exec, s[42:43]
	s_cbranch_vccz .LBB3_102
.LBB3_148:                              ;   in Loop: Header=BB3_103 Depth=2
	s_cmp_lt_i32 s16, s75
	s_cselect_b64 s[2:3], -1, 0
	s_cmp_ge_i32 s74, s20
	s_cselect_b64 s[8:9], -1, 0
	s_or_b64 s[8:9], s[2:3], s[8:9]
	s_mov_b32 s2, s74
	s_branch .LBB3_102
.LBB3_149:                              ;   in Loop: Header=BB3_4 Depth=1
	s_mov_b32 s74, s2
.LBB3_150:                              ;   in Loop: Header=BB3_4 Depth=1
	s_mov_b32 s41, s74
	v_cmp_lt_f32_e32 vcc, s23, v6
	s_andn2_b64 vcc, exec, vcc
	s_cbranch_vccnz .LBB3_154
.LBB3_151:                              ;   in Loop: Header=BB3_4 Depth=1
	global_load_dword v2, v4, s[30:31]
	v_div_scale_f32 v0, s[2:3], v6, v6, s23
	v_rcp_f32_e32 v3, v0
	v_div_scale_f32 v7, vcc, s23, v6, s23
	v_fma_f32 v8, -v0, v3, 1.0
	v_fmac_f32_e32 v3, v8, v3
	v_mul_f32_e32 v8, v7, v3
	v_fma_f32 v9, -v0, v8, v7
	v_fmac_f32_e32 v8, v9, v3
	v_fma_f32 v0, -v0, v8, v7
	v_div_fmas_f32 v0, v0, v3, v8
	v_div_fixup_f32 v0, v0, v6, s23
	s_and_b64 vcc, exec, s[0:1]
	s_waitcnt vmcnt(0)
	v_mul_f32_e32 v2, v0, v2
	global_store_dword v4, v2, s[30:31]
	s_cbranch_vccnz .LBB3_154
; %bb.152:                              ;   in Loop: Header=BB3_4 Depth=1
	s_add_u32 s2, s65, s28
	s_addc_u32 s3, s66, s29
	s_add_u32 s8, s61, s28
	s_addc_u32 s9, s62, s29
	s_mov_b32 s16, s27
.LBB3_153:                              ;   Parent Loop BB3_4 Depth=1
                                        ; =>  This Inner Loop Header: Depth=2
	global_load_dword v2, v4, s[2:3]
	s_add_i32 s16, s16, 1
	s_waitcnt vmcnt(0)
	v_mul_f32_e32 v2, v0, v2
	global_store_dword v4, v2, s[2:3]
	global_load_dword v2, v4, s[8:9]
	s_add_u32 s2, s2, 4
	s_addc_u32 s3, s3, 0
	s_waitcnt vmcnt(0)
	v_mul_f32_e32 v2, v0, v2
	global_store_dword v4, v2, s[8:9]
	s_add_u32 s8, s8, 4
	s_addc_u32 s9, s9, 0
	s_cmp_lt_i32 s16, s26
	s_cbranch_scc1 .LBB3_153
.LBB3_154:                              ;   in Loop: Header=BB3_4 Depth=1
	v_cmp_ngt_f32_e32 vcc, s22, v6
	s_cbranch_vccnz .LBB3_2
; %bb.155:                              ;   in Loop: Header=BB3_4 Depth=1
	global_load_dword v2, v4, s[30:31]
	v_div_scale_f32 v0, s[2:3], v6, v6, s22
	v_rcp_f32_e32 v3, v0
	v_div_scale_f32 v7, vcc, s22, v6, s22
	v_fma_f32 v8, -v0, v3, 1.0
	v_fmac_f32_e32 v3, v8, v3
	v_mul_f32_e32 v8, v7, v3
	v_fma_f32 v9, -v0, v8, v7
	v_fmac_f32_e32 v8, v9, v3
	v_fma_f32 v0, -v0, v8, v7
	v_div_fmas_f32 v0, v0, v3, v8
	v_div_fixup_f32 v0, v0, v6, s22
	s_and_b64 vcc, exec, s[0:1]
	s_waitcnt vmcnt(0)
	v_mul_f32_e32 v2, v0, v2
	global_store_dword v4, v2, s[30:31]
	s_cbranch_vccnz .LBB3_2
; %bb.156:                              ;   in Loop: Header=BB3_4 Depth=1
	s_add_u32 s0, s65, s28
	s_addc_u32 s1, s66, s29
	s_add_u32 s2, s61, s28
	s_addc_u32 s3, s62, s29
.LBB3_157:                              ;   Parent Loop BB3_4 Depth=1
                                        ; =>  This Inner Loop Header: Depth=2
	global_load_dword v2, v4, s[0:1]
	s_add_i32 s27, s27, 1
	s_waitcnt vmcnt(0)
	v_mul_f32_e32 v2, v0, v2
	global_store_dword v4, v2, s[0:1]
	global_load_dword v2, v4, s[2:3]
	s_add_u32 s0, s0, 4
	s_addc_u32 s1, s1, 0
	s_waitcnt vmcnt(0)
	v_mul_f32_e32 v2, v0, v2
	global_store_dword v4, v2, s[2:3]
	s_add_u32 s2, s2, 4
	s_addc_u32 s3, s3, 0
	s_cmp_lt_i32 s27, s26
	s_cbranch_scc1 .LBB3_157
	s_branch .LBB3_2
.LBB3_158:
	s_cmp_lt_i32 s33, 2
	s_cbranch_scc1 .LBB3_169
; %bb.159:
	s_load_dwordx2 s[0:1], s[4:5], 0x28
	s_lshl_b64 s[4:5], s[6:7], 2
	s_mov_b32 s2, 1
	v_mov_b32_e32 v0, 0
	s_waitcnt lgkmcnt(0)
	s_add_u32 s0, s0, s4
	s_addc_u32 s1, s1, s5
	s_branch .LBB3_161
.LBB3_160:                              ;   in Loop: Header=BB3_161 Depth=1
	s_add_i32 s2, s2, 1
	s_add_u32 s14, s14, 4
	s_addc_u32 s15, s15, 0
	s_cmp_lg_u32 s33, s2
	s_cbranch_scc0 .LBB3_163
.LBB3_161:                              ; =>This Inner Loop Header: Depth=1
	global_load_dword v1, v0, s[14:15]
	s_waitcnt vmcnt(0)
	v_cmp_eq_f32_e32 vcc, 0, v1
	s_cbranch_vccnz .LBB3_160
; %bb.162:                              ;   in Loop: Header=BB3_161 Depth=1
	global_load_dword v1, v0, s[0:1]
	s_waitcnt vmcnt(0)
	v_add_u32_e32 v1, 1, v1
	global_store_dword v0, v1, s[0:1]
	s_branch .LBB3_160
.LBB3_163:
	s_add_u32 s14, s54, -4
	s_addc_u32 s15, s55, -1
	s_add_u32 s0, s10, s12
	s_addc_u32 s1, s11, s13
	s_add_u32 s0, s0, 4
	s_addc_u32 s1, s1, 0
	s_mov_b32 s2, 1
	v_mov_b32_e32 v0, 0
	s_branch .LBB3_165
.LBB3_164:                              ;   in Loop: Header=BB3_165 Depth=1
	s_add_i32 s2, s2, 1
	s_add_u32 s0, s0, 4
	s_addc_u32 s1, s1, 0
	s_cmp_lg_u32 s2, s33
	s_cbranch_scc0 .LBB3_169
.LBB3_165:                              ; =>This Loop Header: Depth=1
                                        ;     Child Loop BB3_166 Depth 2
	s_ashr_i32 s3, s2, 31
	s_add_i32 s7, s2, -1
	s_lshl_b64 s[4:5], s[2:3], 2
	s_add_u32 s4, s14, s4
	s_addc_u32 s5, s15, s5
	global_load_dword v1, v0, s[4:5]
	s_mov_b64 s[8:9], s[0:1]
	s_mov_b32 s3, s2
	s_mov_b32 s6, s7
	s_waitcnt vmcnt(0)
	v_mov_b32_e32 v2, v1
.LBB3_166:                              ;   Parent Loop BB3_165 Depth=1
                                        ; =>  This Inner Loop Header: Depth=2
	global_load_dword v3, v0, s[8:9]
	s_waitcnt vmcnt(0)
	v_cmp_lt_f32_e32 vcc, v3, v2
	s_and_b64 s[10:11], vcc, exec
	s_cselect_b32 s6, s3, s6
	s_add_i32 s3, s3, 1
	s_add_u32 s8, s8, 4
	s_addc_u32 s9, s9, 0
	v_cndmask_b32_e32 v2, v2, v3, vcc
	s_cmp_ge_i32 s3, s33
	s_cbranch_scc0 .LBB3_166
; %bb.167:                              ;   in Loop: Header=BB3_165 Depth=1
	s_cmp_lg_u32 s6, s7
	s_cbranch_scc0 .LBB3_164
; %bb.168:                              ;   in Loop: Header=BB3_165 Depth=1
	s_ashr_i32 s7, s6, 31
	s_lshl_b64 s[6:7], s[6:7], 2
	s_add_u32 s6, s54, s6
	s_addc_u32 s7, s55, s7
	global_store_dword v0, v1, s[6:7]
	global_store_dword v0, v2, s[4:5]
	s_branch .LBB3_164
.LBB3_169:
	s_endpgm
	.section	.rodata,"a",@progbits
	.p2align	6, 0x0
	.amdhsa_kernel _ZN9rocsolver6v33100L12sterf_kernelIfEEviPT_lS3_lPiS4_iS2_S2_S2_
		.amdhsa_group_segment_fixed_size 0
		.amdhsa_private_segment_fixed_size 0
		.amdhsa_kernarg_size 72
		.amdhsa_user_sgpr_count 6
		.amdhsa_user_sgpr_private_segment_buffer 1
		.amdhsa_user_sgpr_dispatch_ptr 0
		.amdhsa_user_sgpr_queue_ptr 0
		.amdhsa_user_sgpr_kernarg_segment_ptr 1
		.amdhsa_user_sgpr_dispatch_id 0
		.amdhsa_user_sgpr_flat_scratch_init 0
		.amdhsa_user_sgpr_kernarg_preload_length 0
		.amdhsa_user_sgpr_kernarg_preload_offset 0
		.amdhsa_user_sgpr_private_segment_size 0
		.amdhsa_uses_dynamic_stack 0
		.amdhsa_system_sgpr_private_segment_wavefront_offset 0
		.amdhsa_system_sgpr_workgroup_id_x 1
		.amdhsa_system_sgpr_workgroup_id_y 0
		.amdhsa_system_sgpr_workgroup_id_z 0
		.amdhsa_system_sgpr_workgroup_info 0
		.amdhsa_system_vgpr_workitem_id 0
		.amdhsa_next_free_vgpr 28
		.amdhsa_next_free_sgpr 76
		.amdhsa_accum_offset 28
		.amdhsa_reserve_vcc 1
		.amdhsa_reserve_flat_scratch 0
		.amdhsa_float_round_mode_32 0
		.amdhsa_float_round_mode_16_64 0
		.amdhsa_float_denorm_mode_32 3
		.amdhsa_float_denorm_mode_16_64 3
		.amdhsa_dx10_clamp 1
		.amdhsa_ieee_mode 1
		.amdhsa_fp16_overflow 0
		.amdhsa_tg_split 0
		.amdhsa_exception_fp_ieee_invalid_op 0
		.amdhsa_exception_fp_denorm_src 0
		.amdhsa_exception_fp_ieee_div_zero 0
		.amdhsa_exception_fp_ieee_overflow 0
		.amdhsa_exception_fp_ieee_underflow 0
		.amdhsa_exception_fp_ieee_inexact 0
		.amdhsa_exception_int_div_zero 0
	.end_amdhsa_kernel
	.section	.text._ZN9rocsolver6v33100L12sterf_kernelIfEEviPT_lS3_lPiS4_iS2_S2_S2_,"axG",@progbits,_ZN9rocsolver6v33100L12sterf_kernelIfEEviPT_lS3_lPiS4_iS2_S2_S2_,comdat
.Lfunc_end3:
	.size	_ZN9rocsolver6v33100L12sterf_kernelIfEEviPT_lS3_lPiS4_iS2_S2_S2_, .Lfunc_end3-_ZN9rocsolver6v33100L12sterf_kernelIfEEviPT_lS3_lPiS4_iS2_S2_S2_
                                        ; -- End function
	.section	.AMDGPU.csdata,"",@progbits
; Kernel info:
; codeLenInByte = 7760
; NumSgprs: 80
; NumVgprs: 28
; NumAgprs: 0
; TotalNumVgprs: 28
; ScratchSize: 0
; MemoryBound: 0
; FloatMode: 240
; IeeeMode: 1
; LDSByteSize: 0 bytes/workgroup (compile time only)
; SGPRBlocks: 9
; VGPRBlocks: 3
; NumSGPRsForWavesPerEU: 80
; NumVGPRsForWavesPerEU: 28
; AccumOffset: 28
; Occupancy: 8
; WaveLimiterHint : 0
; COMPUTE_PGM_RSRC2:SCRATCH_EN: 0
; COMPUTE_PGM_RSRC2:USER_SGPR: 6
; COMPUTE_PGM_RSRC2:TRAP_HANDLER: 0
; COMPUTE_PGM_RSRC2:TGID_X_EN: 1
; COMPUTE_PGM_RSRC2:TGID_Y_EN: 0
; COMPUTE_PGM_RSRC2:TGID_Z_EN: 0
; COMPUTE_PGM_RSRC2:TIDIG_COMP_CNT: 0
; COMPUTE_PGM_RSRC3_GFX90A:ACCUM_OFFSET: 6
; COMPUTE_PGM_RSRC3_GFX90A:TG_SPLIT: 0
	.section	.text._ZN9rocsolver6v33100L11lasr_kernelIffPfiEEv13rocblas_side_14rocblas_pivot_15rocblas_direct_T2_S6_PT0_lS8_lT1_lS6_lS6_,"axG",@progbits,_ZN9rocsolver6v33100L11lasr_kernelIffPfiEEv13rocblas_side_14rocblas_pivot_15rocblas_direct_T2_S6_PT0_lS8_lT1_lS6_lS6_,comdat
	.globl	_ZN9rocsolver6v33100L11lasr_kernelIffPfiEEv13rocblas_side_14rocblas_pivot_15rocblas_direct_T2_S6_PT0_lS8_lT1_lS6_lS6_ ; -- Begin function _ZN9rocsolver6v33100L11lasr_kernelIffPfiEEv13rocblas_side_14rocblas_pivot_15rocblas_direct_T2_S6_PT0_lS8_lT1_lS6_lS6_
	.p2align	8
	.type	_ZN9rocsolver6v33100L11lasr_kernelIffPfiEEv13rocblas_side_14rocblas_pivot_15rocblas_direct_T2_S6_PT0_lS8_lT1_lS6_lS6_,@function
_ZN9rocsolver6v33100L11lasr_kernelIffPfiEEv13rocblas_side_14rocblas_pivot_15rocblas_direct_T2_S6_PT0_lS8_lT1_lS6_lS6_: ; @_ZN9rocsolver6v33100L11lasr_kernelIffPfiEEv13rocblas_side_14rocblas_pivot_15rocblas_direct_T2_S6_PT0_lS8_lT1_lS6_lS6_
; %bb.0:
	s_load_dword s33, s[4:5], 0x58
	s_waitcnt lgkmcnt(0)
	s_cmp_ge_u32 s7, s33
	s_cbranch_scc1 .LBB4_98
; %bb.1:
	s_load_dwordx4 s[0:3], s[4:5], 0x38
	s_load_dword s20, s[4:5], 0x48
	s_load_dwordx2 s[22:23], s[4:5], 0x50
	s_load_dword s26, s[4:5], 0x60
	s_load_dwordx2 s[24:25], s[4:5], 0x68
	s_load_dwordx4 s[16:19], s[4:5], 0x0
	s_load_dword s86, s[4:5], 0x10
	s_load_dwordx8 s[8:15], s[4:5], 0x18
	s_waitcnt lgkmcnt(0)
	s_ashr_i32 s21, s20, 31
	s_and_b32 s5, s25, 0xffff
	s_mul_i32 s6, s6, s5
	s_lshl_b64 s[2:3], s[2:3], 2
	v_add_u32_e32 v0, s6, v0
	s_add_u32 s6, s0, s2
	s_addc_u32 s25, s1, s3
	s_cmpk_lg_i32 s16, 0x8d
	s_cselect_b64 s[38:39], -1, 0
	s_cmpk_lg_i32 s16, 0x8e
	s_cselect_b64 s[44:45], -1, 0
	;; [unrolled: 2-line block ×6, first 2 shown]
	s_or_b64 s[28:29], s[38:39], s[42:43]
	s_or_b64 s[16:17], s[28:29], s[52:53]
	s_xor_b64 s[16:17], s[16:17], -1
	s_ashr_i32 s27, s19, 31
	s_add_i32 s62, s19, -2
	s_cmpk_lg_i32 s18, 0xac
	s_cselect_b64 s[54:55], -1, 0
	s_or_b64 s[28:29], s[28:29], s[54:55]
	s_xor_b64 s[28:29], s[28:29], -1
	s_cmp_gt_i32 s19, 1
	s_cselect_b64 s[30:31], -1, 0
	s_or_b64 s[36:37], s[38:39], s[50:51]
	s_or_b64 s[40:41], s[38:39], s[48:49]
	;; [unrolled: 1-line block ×9, first 2 shown]
	s_xor_b64 s[34:35], s[34:35], -1
	s_xor_b64 s[36:37], s[36:37], -1
	;; [unrolled: 1-line block ×5, first 2 shown]
	s_add_i32 s18, s86, -1
	s_xor_b64 s[46:47], s[46:47], -1
                                        ; implicit-def: $vgpr42 : SGPR spill to VGPR lane
	s_add_i32 s68, s86, -2
	v_writelane_b32 v42, s46, 0
	s_cmp_gt_i32 s86, 1
	v_writelane_b32 v42, s47, 1
	s_cselect_b64 s[46:47], -1, 0
	s_or_b64 s[50:51], s[44:45], s[50:51]
	s_or_b64 s[56:57], s[50:51], s[52:53]
	s_xor_b64 s[56:57], s[56:57], -1
	v_writelane_b32 v42, s56, 2
	s_or_b64 s[50:51], s[50:51], s[54:55]
	v_writelane_b32 v42, s57, 3
	s_xor_b64 s[50:51], s[50:51], -1
	s_or_b64 s[44:45], s[44:45], s[48:49]
	v_writelane_b32 v42, s50, 4
	s_or_b64 s[48:49], s[44:45], s[52:53]
	v_writelane_b32 v42, s51, 5
	s_xor_b64 s[48:49], s[48:49], -1
	v_writelane_b32 v42, s48, 6
	v_cmp_le_i32_e32 vcc, s19, v0
	v_writelane_b32 v42, s49, 7
	s_or_b64 s[48:49], s[54:55], vcc
	s_or_b64 s[44:45], s[44:45], s[48:49]
	s_xor_b64 s[44:45], s[44:45], -1
	v_writelane_b32 v42, s44, 8
	s_mul_i32 s4, s26, s5
	v_writelane_b32 v42, s45, 9
	v_mad_i64_i32 v[2:3], s[44:45], s20, v0, 0
	s_mul_hi_i32 s45, s20, s4
	s_mul_i32 s44, s20, s4
	s_mov_b32 s63, 0
	s_add_i32 s56, s19, -1
	s_lshl_b64 s[58:59], s[22:23], 2
	s_ashr_i32 s5, s4, 31
	s_lshl_b64 s[60:61], s[44:45], 2
	s_lshl_b64 s[10:11], s[10:11], 2
	;; [unrolled: 1-line block ×4, first 2 shown]
	s_add_u32 s87, s8, s44
	s_addc_u32 s88, s9, s45
	s_add_u32 s89, s12, s44
	s_addc_u32 s90, s13, s45
	s_mov_b32 s57, s63
	s_add_u32 s26, s0, s44
	s_addc_u32 s48, s1, s45
	s_add_i32 s91, s19, 1
	s_lshl_b64 s[44:45], s[56:57], 2
	s_add_u32 s49, s0, s44
	v_lshlrev_b64 v[2:3], 2, v[2:3]
	s_addc_u32 s50, s1, s45
	s_mul_i32 s44, s21, s18
	s_mul_hi_u32 s45, s20, s18
	s_mul_i32 s62, s20, s18
	v_mov_b32_e32 v1, s3
	v_add_co_u32_e32 v4, vcc, s2, v2
	s_add_i32 s45, s45, s44
	s_mov_b32 s44, s62
	v_addc_co_u32_e32 v1, vcc, v3, v1, vcc
	s_lshl_b64 s[44:45], s[44:45], 2
	s_lshl_b64 s[64:65], s[20:21], 2
	;; [unrolled: 1-line block ×3, first 2 shown]
	s_add_u32 s5, s44, s2
	v_mov_b32_e32 v2, s1
	v_add_co_u32_e32 v18, vcc, s0, v4
	s_addc_u32 s44, s45, s3
	v_addc_co_u32_e32 v19, vcc, v2, v1, vcc
	s_mov_b32 s69, s63
	s_add_u32 s51, s0, s5
	v_add_co_u32_e32 v2, vcc, 4, v18
	s_addc_u32 s52, s1, s44
	s_lshl_b64 s[44:45], s[68:69], 2
	v_addc_co_u32_e32 v3, vcc, 0, v19, vcc
	s_add_u32 s5, s8, s44
	v_mov_b32_e32 v5, s48
	v_add_co_u32_e32 v20, vcc, s26, v4
	s_addc_u32 s57, s9, s45
	v_addc_co_u32_e32 v21, vcc, v5, v1, vcc
	s_add_u32 s92, s12, s44
	s_mul_i32 s21, s21, s68
	s_mul_hi_u32 s44, s20, s68
	v_add_co_u32_e32 v22, vcc, 4, v20
	s_addc_u32 s93, s13, s45
	s_add_i32 s45, s44, s21
	s_mul_i32 s44, s20, s68
	v_addc_co_u32_e32 v23, vcc, 0, v21, vcc
	s_lshl_b64 s[44:45], s[44:45], 2
	v_mov_b32_e32 v5, s50
	v_add_co_u32_e32 v24, vcc, s49, v4
	s_add_u32 s21, s44, s2
	v_addc_co_u32_e32 v25, vcc, v5, v1, vcc
	v_ashrrev_i32_e32 v1, 31, v0
	s_addc_u32 s44, s45, s3
	v_lshlrev_b64 v[4:5], 2, v[0:1]
	s_add_u32 s21, s0, s21
	v_mov_b32_e32 v6, s25
	v_add_co_u32_e32 v1, vcc, s6, v4
	s_addc_u32 s44, s1, s44
	v_addc_co_u32_e32 v26, vcc, v6, v5, vcc
	s_add_u32 s2, s2, s64
	v_mov_b32_e32 v6, s52
	v_add_co_u32_e32 v27, vcc, s51, v4
	s_addc_u32 s3, s3, s65
	v_addc_co_u32_e32 v28, vcc, v6, v5, vcc
	;; [unrolled: 5-line block ×3, first 2 shown]
	s_add_i32 s21, s86, 1
	v_mov_b32_e32 v6, s1
	v_add_co_u32_e32 v31, vcc, s2, v4
	s_sub_u32 s94, 0, s64
	v_addc_co_u32_e32 v32, vcc, v6, v5, vcc
	s_mov_b32 s26, s19
	s_mul_hi_i32 s63, s20, s18
	s_subb_u32 s95, 0, s65
	v_mov_b32_e32 v33, 0
	v_mov_b32_e32 v34, s61
	v_cmp_gt_i32_e64 s[0:1], s86, v0
	v_cmp_gt_i32_e64 s[2:3], s19, v0
	s_branch .LBB4_4
.LBB4_2:                                ;   in Loop: Header=BB4_4 Depth=1
	s_or_b64 exec, exec, s[68:69]
.LBB4_3:                                ;   in Loop: Header=BB4_4 Depth=1
	s_add_i32 s7, s7, s24
	s_cmp_ge_u32 s7, s33
	s_cbranch_scc1 .LBB4_98
.LBB4_4:                                ; =>This Loop Header: Depth=1
                                        ;     Child Loop BB4_8 Depth 2
                                        ;       Child Loop BB4_9 Depth 3
                                        ;     Child Loop BB4_16 Depth 2
                                        ;       Child Loop BB4_17 Depth 3
	;; [unrolled: 2-line block ×12, first 2 shown]
	s_mul_i32 s44, s11, s7
	s_mul_hi_u32 s45, s10, s7
	s_add_i32 s84, s45, s44
	s_mul_i32 s44, s15, s7
	s_mul_hi_u32 s45, s14, s7
	s_mul_i32 s85, s10, s7
	s_add_i32 s50, s45, s44
	s_add_u32 s68, s8, s85
	v_mov_b32_e32 v4, s7
	s_mul_i32 s51, s14, s7
	s_addc_u32 s69, s9, s84
	v_mad_u64_u32 v[4:5], s[44:45], s58, v4, v[2:3]
	s_add_u32 s70, s12, s51
	s_mul_i32 s44, s7, s23
	s_mul_hi_u32 s45, s7, s22
	s_addc_u32 s71, s13, s50
	s_add_i32 s45, s45, s44
	s_mul_i32 s44, s7, s22
	s_lshl_b64 s[44:45], s[44:45], 2
	s_mul_i32 s52, s59, s7
	s_add_u32 s54, s6, s44
	v_add_u32_e32 v5, s52, v5
	s_addc_u32 s55, s25, s45
	s_andn2_b64 vcc, exec, s[16:17]
	s_mov_b64 s[72:73], -1
	s_cbranch_vccnz .LBB4_11
; %bb.5:                                ;   in Loop: Header=BB4_4 Depth=1
	s_and_saveexec_b64 s[72:73], s[0:1]
	s_cbranch_execz .LBB4_10
; %bb.6:                                ;   in Loop: Header=BB4_4 Depth=1
	s_lshl_b64 s[44:45], s[26:27], 2
	s_add_u32 s44, s54, s44
	s_addc_u32 s45, s55, s45
	s_add_u32 s48, s44, -4
	s_addc_u32 s44, s45, -1
	s_mov_b64 s[74:75], 0
	v_mov_b32_e32 v12, s55
	v_mov_b32_e32 v13, s44
	v_pk_mov_b32 v[6:7], v[4:5], v[4:5] op_sel:[0,1]
	v_mov_b32_e32 v14, v0
	s_branch .LBB4_8
.LBB4_7:                                ;   in Loop: Header=BB4_8 Depth=2
	v_add_co_u32_e32 v8, vcc, s48, v8
	v_addc_co_u32_e32 v9, vcc, v13, v9, vcc
	v_add_u32_e32 v14, s4, v14
	v_cmp_le_i32_e32 vcc, s86, v14
	s_or_b64 s[74:75], vcc, s[74:75]
	v_add_co_u32_e32 v6, vcc, s60, v6
	v_addc_co_u32_e32 v7, vcc, v7, v34, vcc
	s_waitcnt vmcnt(0)
	global_store_dword v[8:9], v15, off
	s_andn2_b64 exec, exec, s[74:75]
	s_cbranch_execz .LBB4_10
.LBB4_8:                                ;   Parent Loop BB4_4 Depth=1
                                        ; =>  This Loop Header: Depth=2
                                        ;       Child Loop BB4_9 Depth 3
	v_mad_i64_i32 v[8:9], s[44:45], v14, s20, 0
	v_lshlrev_b64 v[8:9], 2, v[8:9]
	v_add_co_u32_e32 v10, vcc, s54, v8
	v_addc_co_u32_e32 v11, vcc, v12, v9, vcc
	global_load_dword v15, v[10:11], off
	s_andn2_b64 vcc, exec, s[30:31]
	s_mov_b64 s[76:77], s[70:71]
	s_mov_b64 s[78:79], s[68:69]
	v_pk_mov_b32 v[10:11], v[6:7], v[6:7] op_sel:[0,1]
	s_mov_b32 s44, s56
	s_cbranch_vccnz .LBB4_7
.LBB4_9:                                ;   Parent Loop BB4_4 Depth=1
                                        ;     Parent Loop BB4_8 Depth=2
                                        ; =>    This Inner Loop Header: Depth=3
	global_load_dword v16, v33, s[76:77]
	global_load_dword v17, v[10:11], off
	global_load_dword v35, v33, s[78:79]
	s_add_i32 s44, s44, -1
	s_add_u32 s78, s78, 4
	s_addc_u32 s79, s79, 0
	s_add_u32 s76, s76, 4
	s_addc_u32 s77, s77, 0
	s_cmp_eq_u32 s44, 0
	s_waitcnt vmcnt(1)
	v_mul_f32_e32 v36, v16, v17
	s_waitcnt vmcnt(0)
	v_fmac_f32_e32 v36, v15, v35
	v_mul_f32_e32 v16, v15, v16
	global_store_dword v[10:11], v36, off offset:-4
	v_add_co_u32_e32 v10, vcc, 4, v10
	v_fma_f32 v15, v35, v17, -v16
	v_addc_co_u32_e32 v11, vcc, 0, v11, vcc
	s_cbranch_scc0 .LBB4_9
	s_branch .LBB4_7
.LBB4_10:                               ;   in Loop: Header=BB4_4 Depth=1
	s_or_b64 exec, exec, s[72:73]
	s_mov_b64 s[72:73], 0
.LBB4_11:                               ;   in Loop: Header=BB4_4 Depth=1
	s_andn2_b64 vcc, exec, s[72:73]
	s_cbranch_vccnz .LBB4_3
; %bb.12:                               ;   in Loop: Header=BB4_4 Depth=1
	s_mul_hi_u32 s44, s58, s7
	s_add_i32 s52, s44, s52
	s_add_u32 s72, s87, s85
	s_addc_u32 s73, s88, s84
	s_add_u32 s74, s89, s51
	s_mul_i32 s53, s58, s7
	s_addc_u32 s75, s90, s50
	s_andn2_b64 vcc, exec, s[28:29]
	s_mov_b64 s[76:77], -1
	s_cbranch_vccnz .LBB4_19
; %bb.13:                               ;   in Loop: Header=BB4_4 Depth=1
	s_and_saveexec_b64 s[76:77], s[0:1]
	s_cbranch_execz .LBB4_18
; %bb.14:                               ;   in Loop: Header=BB4_4 Depth=1
	s_lshl_b64 s[44:45], s[26:27], 2
	s_add_u32 s44, s54, s44
	s_addc_u32 s45, s55, s45
	s_add_u32 s48, s44, -4
	v_mov_b32_e32 v7, s52
	v_add_co_u32_e32 v6, vcc, s53, v22
	s_addc_u32 s44, s45, -1
	v_addc_co_u32_e32 v7, vcc, v23, v7, vcc
	s_mov_b64 s[78:79], 0
	v_mov_b32_e32 v12, s44
	v_mov_b32_e32 v13, v0
	s_branch .LBB4_16
.LBB4_15:                               ;   in Loop: Header=BB4_16 Depth=2
	v_mov_b32_e32 v10, s55
	v_add_co_u32_e32 v8, vcc, s54, v8
	v_addc_co_u32_e32 v9, vcc, v10, v9, vcc
	v_add_u32_e32 v13, s4, v13
	v_cmp_le_i32_e32 vcc, s86, v13
	s_waitcnt vmcnt(0)
	global_store_dword v[8:9], v14, off
	v_mov_b32_e32 v8, s61
	s_or_b64 s[78:79], vcc, s[78:79]
	v_add_co_u32_e32 v6, vcc, s60, v6
	v_addc_co_u32_e32 v7, vcc, v7, v8, vcc
	s_andn2_b64 exec, exec, s[78:79]
	s_cbranch_execz .LBB4_18
.LBB4_16:                               ;   Parent Loop BB4_4 Depth=1
                                        ; =>  This Loop Header: Depth=2
                                        ;       Child Loop BB4_17 Depth 3
	v_mad_i64_i32 v[8:9], s[44:45], v13, s20, 0
	v_lshlrev_b64 v[8:9], 2, v[8:9]
	v_add_co_u32_e32 v10, vcc, s48, v8
	v_addc_co_u32_e32 v11, vcc, v12, v9, vcc
	global_load_dword v14, v[10:11], off
	s_andn2_b64 vcc, exec, s[30:31]
	v_pk_mov_b32 v[10:11], v[6:7], v[6:7] op_sel:[0,1]
	s_mov_b64 s[80:81], s[74:75]
	s_mov_b64 s[82:83], s[72:73]
	s_mov_b32 s49, s56
	s_cbranch_vccnz .LBB4_15
.LBB4_17:                               ;   Parent Loop BB4_4 Depth=1
                                        ;     Parent Loop BB4_16 Depth=2
                                        ; =>    This Inner Loop Header: Depth=3
	global_load_dword v15, v33, s[80:81]
	global_load_dword v35, v[10:11], off offset:-4
	global_load_dword v36, v33, s[82:83]
	s_add_i32 s49, s49, -1
	s_add_u32 s82, s82, -4
	s_addc_u32 s83, s83, -1
	v_add_co_u32_e32 v16, vcc, -4, v10
	s_waitcnt vmcnt(3)
	v_mov_b32_e32 v37, v14
	s_add_u32 s80, s80, -4
	v_addc_co_u32_e32 v17, vcc, -1, v11, vcc
	s_addc_u32 s81, s81, -1
	s_cmp_eq_u32 s49, 0
	s_waitcnt vmcnt(1)
	v_mul_f32_e32 v38, v15, v35
	s_waitcnt vmcnt(0)
	v_mul_f32_e32 v14, v36, v35
	v_fma_f32 v35, v37, v36, -v38
	v_fmac_f32_e32 v14, v37, v15
	global_store_dword v[10:11], v35, off
	v_pk_mov_b32 v[10:11], v[16:17], v[16:17] op_sel:[0,1]
	s_cbranch_scc0 .LBB4_17
	s_branch .LBB4_15
.LBB4_18:                               ;   in Loop: Header=BB4_4 Depth=1
	s_or_b64 exec, exec, s[76:77]
	s_mov_b64 s[76:77], 0
.LBB4_19:                               ;   in Loop: Header=BB4_4 Depth=1
	s_andn2_b64 vcc, exec, s[76:77]
	s_cbranch_vccnz .LBB4_3
; %bb.20:                               ;   in Loop: Header=BB4_4 Depth=1
	s_andn2_b64 vcc, exec, s[34:35]
	s_mov_b64 s[76:77], -1
	s_cbranch_vccnz .LBB4_27
; %bb.21:                               ;   in Loop: Header=BB4_4 Depth=1
	s_and_saveexec_b64 s[76:77], s[0:1]
	s_cbranch_execz .LBB4_26
; %bb.22:                               ;   in Loop: Header=BB4_4 Depth=1
	s_mov_b64 s[78:79], 0
	v_mov_b32_e32 v10, v0
	s_branch .LBB4_24
.LBB4_23:                               ;   in Loop: Header=BB4_24 Depth=2
	v_add_u32_e32 v10, s4, v10
	v_cmp_le_i32_e32 vcc, s86, v10
	s_waitcnt vmcnt(0)
	global_store_dword v[6:7], v11, off
	v_mov_b32_e32 v6, s61
	s_or_b64 s[78:79], vcc, s[78:79]
	v_add_co_u32_e32 v4, vcc, s60, v4
	v_addc_co_u32_e32 v5, vcc, v5, v6, vcc
	s_andn2_b64 exec, exec, s[78:79]
	s_cbranch_execz .LBB4_26
.LBB4_24:                               ;   Parent Loop BB4_4 Depth=1
                                        ; =>  This Loop Header: Depth=2
                                        ;       Child Loop BB4_25 Depth 3
	v_mad_i64_i32 v[6:7], s[44:45], v10, s20, 0
	v_lshlrev_b64 v[6:7], 2, v[6:7]
	v_mov_b32_e32 v8, s55
	v_add_co_u32_e32 v6, vcc, s54, v6
	v_addc_co_u32_e32 v7, vcc, v8, v7, vcc
	global_load_dword v11, v[6:7], off
	s_andn2_b64 vcc, exec, s[30:31]
	v_pk_mov_b32 v[8:9], v[4:5], v[4:5] op_sel:[0,1]
	s_mov_b32 s48, s56
	s_mov_b64 s[80:81], s[68:69]
	s_mov_b64 s[82:83], s[70:71]
	s_cbranch_vccnz .LBB4_23
.LBB4_25:                               ;   Parent Loop BB4_4 Depth=1
                                        ;     Parent Loop BB4_24 Depth=2
                                        ; =>    This Inner Loop Header: Depth=3
	global_load_dword v12, v33, s[82:83]
	global_load_dword v13, v[8:9], off
	global_load_dword v14, v33, s[80:81]
	s_waitcnt vmcnt(3)
	v_mov_b32_e32 v15, v11
	s_add_u32 s82, s82, 4
	s_addc_u32 s83, s83, 0
	s_add_u32 s80, s80, 4
	s_addc_u32 s81, s81, 0
	s_add_i32 s48, s48, -1
	s_cmp_eq_u32 s48, 0
	s_waitcnt vmcnt(2)
	v_mul_f32_e32 v16, v15, v12
	s_waitcnt vmcnt(1)
	v_mul_f32_e32 v11, v12, v13
	s_waitcnt vmcnt(0)
	v_fma_f32 v12, v14, v13, -v16
	global_store_dword v[8:9], v12, off
	v_add_co_u32_e32 v8, vcc, 4, v8
	v_fmac_f32_e32 v11, v15, v14
	v_addc_co_u32_e32 v9, vcc, 0, v9, vcc
	s_cbranch_scc0 .LBB4_25
	s_branch .LBB4_23
.LBB4_26:                               ;   in Loop: Header=BB4_4 Depth=1
	s_or_b64 exec, exec, s[76:77]
	s_mov_b64 s[76:77], 0
.LBB4_27:                               ;   in Loop: Header=BB4_4 Depth=1
	s_andn2_b64 vcc, exec, s[76:77]
	s_cbranch_vccnz .LBB4_3
; %bb.28:                               ;   in Loop: Header=BB4_4 Depth=1
	s_andn2_b64 vcc, exec, s[36:37]
	s_mov_b64 s[76:77], -1
	s_cbranch_vccnz .LBB4_35
; %bb.29:                               ;   in Loop: Header=BB4_4 Depth=1
	s_and_saveexec_b64 s[76:77], s[0:1]
	s_cbranch_execz .LBB4_34
; %bb.30:                               ;   in Loop: Header=BB4_4 Depth=1
	v_mov_b32_e32 v5, s52
	v_add_co_u32_e32 v4, vcc, s53, v24
	v_addc_co_u32_e32 v5, vcc, v25, v5, vcc
	s_mov_b64 s[78:79], 0
	v_mov_b32_e32 v10, v0
	s_branch .LBB4_32
.LBB4_31:                               ;   in Loop: Header=BB4_32 Depth=2
	v_add_u32_e32 v10, s4, v10
	v_cmp_le_i32_e32 vcc, s86, v10
	s_waitcnt vmcnt(0)
	global_store_dword v[6:7], v11, off
	v_mov_b32_e32 v6, s61
	s_or_b64 s[78:79], vcc, s[78:79]
	v_add_co_u32_e32 v4, vcc, s60, v4
	v_addc_co_u32_e32 v5, vcc, v5, v6, vcc
	s_andn2_b64 exec, exec, s[78:79]
	s_cbranch_execz .LBB4_34
.LBB4_32:                               ;   Parent Loop BB4_4 Depth=1
                                        ; =>  This Loop Header: Depth=2
                                        ;       Child Loop BB4_33 Depth 3
	v_mad_i64_i32 v[6:7], s[44:45], v10, s20, 0
	v_lshlrev_b64 v[6:7], 2, v[6:7]
	v_mov_b32_e32 v8, s55
	v_add_co_u32_e32 v6, vcc, s54, v6
	v_addc_co_u32_e32 v7, vcc, v8, v7, vcc
	global_load_dword v11, v[6:7], off
	s_andn2_b64 vcc, exec, s[30:31]
	v_pk_mov_b32 v[8:9], v[4:5], v[4:5] op_sel:[0,1]
	s_mov_b64 s[80:81], s[74:75]
	s_mov_b64 s[82:83], s[72:73]
	s_mov_b32 s44, s91
	s_cbranch_vccnz .LBB4_31
.LBB4_33:                               ;   Parent Loop BB4_4 Depth=1
                                        ;     Parent Loop BB4_32 Depth=2
                                        ; =>    This Inner Loop Header: Depth=3
	global_load_dword v12, v33, s[80:81]
	global_load_dword v13, v[8:9], off
	global_load_dword v14, v33, s[82:83]
	s_add_i32 s44, s44, -1
	s_waitcnt vmcnt(3)
	v_mov_b32_e32 v15, v11
	s_add_u32 s82, s82, -4
	s_addc_u32 s83, s83, -1
	s_add_u32 s80, s80, -4
	s_addc_u32 s81, s81, -1
	s_cmp_lt_u32 s44, 3
	s_waitcnt vmcnt(2)
	v_mul_f32_e32 v16, v15, v12
	s_waitcnt vmcnt(1)
	v_mul_f32_e32 v11, v12, v13
	s_waitcnt vmcnt(0)
	v_fma_f32 v12, v14, v13, -v16
	global_store_dword v[8:9], v12, off
	v_add_co_u32_e32 v8, vcc, -4, v8
	v_fmac_f32_e32 v11, v15, v14
	v_addc_co_u32_e32 v9, vcc, -1, v9, vcc
	s_cbranch_scc0 .LBB4_33
	s_branch .LBB4_31
.LBB4_34:                               ;   in Loop: Header=BB4_4 Depth=1
	s_or_b64 exec, exec, s[76:77]
	s_mov_b64 s[76:77], 0
.LBB4_35:                               ;   in Loop: Header=BB4_4 Depth=1
	s_andn2_b64 vcc, exec, s[76:77]
	s_cbranch_vccnz .LBB4_3
; %bb.36:                               ;   in Loop: Header=BB4_4 Depth=1
	s_andn2_b64 vcc, exec, s[38:39]
	s_mov_b64 s[76:77], -1
	s_cbranch_vccnz .LBB4_43
; %bb.37:                               ;   in Loop: Header=BB4_4 Depth=1
	s_and_saveexec_b64 s[76:77], s[0:1]
	s_cbranch_execz .LBB4_42
; %bb.38:                               ;   in Loop: Header=BB4_4 Depth=1
	s_lshl_b64 s[44:45], s[26:27], 2
	s_add_u32 s44, s54, s44
	s_addc_u32 s45, s55, s45
	v_mov_b32_e32 v5, s52
	v_add_co_u32_e32 v4, vcc, s53, v18
	s_add_u32 s48, s44, -4
	v_addc_co_u32_e32 v5, vcc, v19, v5, vcc
	s_addc_u32 s49, s45, -1
	s_mov_b64 s[78:79], 0
	v_mov_b32_e32 v10, v0
	s_branch .LBB4_40
.LBB4_39:                               ;   in Loop: Header=BB4_40 Depth=2
	v_add_u32_e32 v10, s4, v10
	v_cmp_le_i32_e32 vcc, s86, v10
	s_waitcnt vmcnt(0)
	global_store_dword v[6:7], v11, off
	v_mov_b32_e32 v6, s61
	s_or_b64 s[78:79], vcc, s[78:79]
	v_add_co_u32_e32 v4, vcc, s60, v4
	v_addc_co_u32_e32 v5, vcc, v5, v6, vcc
	s_andn2_b64 exec, exec, s[78:79]
	s_cbranch_execz .LBB4_42
.LBB4_40:                               ;   Parent Loop BB4_4 Depth=1
                                        ; =>  This Loop Header: Depth=2
                                        ;       Child Loop BB4_41 Depth 3
	v_mad_i64_i32 v[6:7], s[44:45], v10, s20, 0
	v_lshlrev_b64 v[6:7], 2, v[6:7]
	v_mov_b32_e32 v8, s49
	v_add_co_u32_e32 v6, vcc, s48, v6
	v_addc_co_u32_e32 v7, vcc, v8, v7, vcc
	global_load_dword v11, v[6:7], off
	s_andn2_b64 vcc, exec, s[30:31]
	v_pk_mov_b32 v[8:9], v[4:5], v[4:5] op_sel:[0,1]
	s_mov_b64 s[80:81], s[70:71]
	s_mov_b64 s[82:83], s[68:69]
	s_mov_b32 s44, s56
	s_cbranch_vccnz .LBB4_39
.LBB4_41:                               ;   Parent Loop BB4_4 Depth=1
                                        ;     Parent Loop BB4_40 Depth=2
                                        ; =>    This Inner Loop Header: Depth=3
	global_load_dword v12, v[8:9], off
	global_load_dword v13, v33, s[82:83]
	global_load_dword v14, v33, s[80:81]
	s_add_i32 s44, s44, -1
	s_add_u32 s82, s82, 4
	s_addc_u32 s83, s83, 0
	s_add_u32 s80, s80, 4
	s_addc_u32 s81, s81, 0
	s_cmp_eq_u32 s44, 0
	s_waitcnt vmcnt(1)
	v_mul_f32_e32 v15, v13, v12
	s_waitcnt vmcnt(0)
	v_fmac_f32_e32 v15, v11, v14
	v_mul_f32_e32 v12, v14, v12
	global_store_dword v[8:9], v15, off
	v_add_co_u32_e32 v8, vcc, 4, v8
	v_fma_f32 v11, v11, v13, -v12
	v_addc_co_u32_e32 v9, vcc, 0, v9, vcc
	s_cbranch_scc0 .LBB4_41
	s_branch .LBB4_39
.LBB4_42:                               ;   in Loop: Header=BB4_4 Depth=1
	s_or_b64 exec, exec, s[76:77]
	s_mov_b64 s[76:77], 0
.LBB4_43:                               ;   in Loop: Header=BB4_4 Depth=1
	s_andn2_b64 vcc, exec, s[76:77]
	s_cbranch_vccnz .LBB4_3
; %bb.44:                               ;   in Loop: Header=BB4_4 Depth=1
	s_andn2_b64 vcc, exec, s[40:41]
	s_mov_b64 s[76:77], -1
	s_cbranch_vccnz .LBB4_51
; %bb.45:                               ;   in Loop: Header=BB4_4 Depth=1
	s_and_saveexec_b64 s[76:77], s[0:1]
	s_cbranch_execz .LBB4_50
; %bb.46:                               ;   in Loop: Header=BB4_4 Depth=1
	s_lshl_b64 s[44:45], s[26:27], 2
	s_add_u32 s44, s54, s44
	s_addc_u32 s45, s55, s45
	v_mov_b32_e32 v5, s52
	v_add_co_u32_e32 v4, vcc, s53, v20
	s_add_u32 s48, s44, -4
	v_addc_co_u32_e32 v5, vcc, v21, v5, vcc
	s_addc_u32 s49, s45, -1
	s_mov_b64 s[78:79], 0
	v_mov_b32_e32 v10, v0
	s_branch .LBB4_48
.LBB4_47:                               ;   in Loop: Header=BB4_48 Depth=2
	v_add_u32_e32 v10, s4, v10
	v_cmp_le_i32_e32 vcc, s86, v10
	s_waitcnt vmcnt(0)
	global_store_dword v[6:7], v11, off
	v_mov_b32_e32 v6, s61
	s_or_b64 s[78:79], vcc, s[78:79]
	v_add_co_u32_e32 v4, vcc, s60, v4
	v_addc_co_u32_e32 v5, vcc, v5, v6, vcc
	s_andn2_b64 exec, exec, s[78:79]
	s_cbranch_execz .LBB4_50
.LBB4_48:                               ;   Parent Loop BB4_4 Depth=1
                                        ; =>  This Loop Header: Depth=2
                                        ;       Child Loop BB4_49 Depth 3
	v_mad_i64_i32 v[6:7], s[44:45], v10, s20, 0
	v_lshlrev_b64 v[6:7], 2, v[6:7]
	v_mov_b32_e32 v8, s49
	v_add_co_u32_e32 v6, vcc, s48, v6
	v_addc_co_u32_e32 v7, vcc, v8, v7, vcc
	global_load_dword v11, v[6:7], off
	s_andn2_b64 vcc, exec, s[30:31]
	v_pk_mov_b32 v[8:9], v[4:5], v[4:5] op_sel:[0,1]
	s_mov_b64 s[80:81], s[74:75]
	s_mov_b64 s[82:83], s[72:73]
	s_mov_b32 s44, s56
	s_cbranch_vccnz .LBB4_47
.LBB4_49:                               ;   Parent Loop BB4_4 Depth=1
                                        ;     Parent Loop BB4_48 Depth=2
                                        ; =>    This Inner Loop Header: Depth=3
	global_load_dword v12, v[8:9], off
	global_load_dword v13, v33, s[82:83]
	global_load_dword v14, v33, s[80:81]
	s_add_i32 s44, s44, -1
	s_add_u32 s82, s82, -4
	s_addc_u32 s83, s83, -1
	s_add_u32 s80, s80, -4
	s_addc_u32 s81, s81, -1
	s_cmp_eq_u32 s44, 0
	s_waitcnt vmcnt(1)
	v_mul_f32_e32 v15, v13, v12
	s_waitcnt vmcnt(0)
	v_fmac_f32_e32 v15, v11, v14
	v_mul_f32_e32 v12, v14, v12
	global_store_dword v[8:9], v15, off
	v_add_co_u32_e32 v8, vcc, -4, v8
	v_fma_f32 v11, v11, v13, -v12
	v_addc_co_u32_e32 v9, vcc, -1, v9, vcc
	s_cbranch_scc0 .LBB4_49
	s_branch .LBB4_47
.LBB4_50:                               ;   in Loop: Header=BB4_4 Depth=1
	s_or_b64 exec, exec, s[76:77]
	s_mov_b64 s[76:77], 0
.LBB4_51:                               ;   in Loop: Header=BB4_4 Depth=1
	s_andn2_b64 vcc, exec, s[76:77]
	s_cbranch_vccnz .LBB4_3
; %bb.52:                               ;   in Loop: Header=BB4_4 Depth=1
	v_mov_b32_e32 v5, s52
	v_add_co_u32_e32 v4, vcc, s53, v1
	v_addc_co_u32_e32 v5, vcc, v26, v5, vcc
	s_andn2_b64 vcc, exec, s[42:43]
	s_mov_b64 s[72:73], -1
	s_cbranch_vccnz .LBB4_59
; %bb.53:                               ;   in Loop: Header=BB4_4 Depth=1
	s_and_saveexec_b64 s[72:73], s[2:3]
	s_cbranch_execz .LBB4_58
; %bb.54:                               ;   in Loop: Header=BB4_4 Depth=1
	s_lshl_b64 s[44:45], s[62:63], 2
	s_add_u32 s80, s54, s44
	s_addc_u32 s48, s55, s45
	s_mov_b64 s[74:75], 0
	v_pk_mov_b32 v[6:7], v[4:5], v[4:5] op_sel:[0,1]
	v_mov_b32_e32 v8, v0
	s_branch .LBB4_56
.LBB4_55:                               ;   in Loop: Header=BB4_56 Depth=2
	v_mov_b32_e32 v12, s48
	v_add_co_u32_e32 v10, vcc, s80, v10
	v_addc_co_u32_e32 v11, vcc, v12, v11, vcc
	v_add_u32_e32 v8, s4, v8
	v_cmp_le_i32_e32 vcc, s19, v8
	s_waitcnt vmcnt(0)
	global_store_dword v[10:11], v9, off
	v_mov_b32_e32 v9, s67
	s_or_b64 s[74:75], vcc, s[74:75]
	v_add_co_u32_e32 v6, vcc, s66, v6
	v_addc_co_u32_e32 v7, vcc, v7, v9, vcc
	s_andn2_b64 exec, exec, s[74:75]
	s_cbranch_execz .LBB4_58
.LBB4_56:                               ;   Parent Loop BB4_4 Depth=1
                                        ; =>  This Loop Header: Depth=2
                                        ;       Child Loop BB4_57 Depth 3
	v_ashrrev_i32_e32 v9, 31, v8
	v_lshlrev_b64 v[10:11], 2, v[8:9]
	v_mov_b32_e32 v9, s55
	v_add_co_u32_e32 v12, vcc, s54, v10
	v_addc_co_u32_e32 v13, vcc, v9, v11, vcc
	global_load_dword v9, v[12:13], off
	s_andn2_b64 vcc, exec, s[46:47]
	s_mov_b64 s[76:77], s[70:71]
	s_mov_b64 s[78:79], s[68:69]
	v_pk_mov_b32 v[12:13], v[6:7], v[6:7] op_sel:[0,1]
	s_mov_b32 s44, s18
	s_cbranch_vccnz .LBB4_55
.LBB4_57:                               ;   Parent Loop BB4_4 Depth=1
                                        ;     Parent Loop BB4_56 Depth=2
                                        ; =>    This Inner Loop Header: Depth=3
	v_mov_b32_e32 v15, s65
	v_add_co_u32_e32 v14, vcc, s64, v12
	global_load_dword v16, v33, s[76:77]
	v_addc_co_u32_e32 v15, vcc, v13, v15, vcc
	global_load_dword v17, v[14:15], off
	global_load_dword v35, v33, s[78:79]
	s_add_i32 s44, s44, -1
	s_add_u32 s78, s78, 4
	s_addc_u32 s79, s79, 0
	s_add_u32 s76, s76, 4
	s_addc_u32 s77, s77, 0
	s_cmp_eq_u32 s44, 0
	s_waitcnt vmcnt(2)
	v_mul_f32_e32 v36, v9, v16
	s_waitcnt vmcnt(1)
	v_mul_f32_e32 v16, v16, v17
	s_waitcnt vmcnt(0)
	v_fmac_f32_e32 v16, v9, v35
	v_fma_f32 v9, v35, v17, -v36
	global_store_dword v[12:13], v16, off
	v_pk_mov_b32 v[12:13], v[14:15], v[14:15] op_sel:[0,1]
	s_cbranch_scc0 .LBB4_57
	s_branch .LBB4_55
.LBB4_58:                               ;   in Loop: Header=BB4_4 Depth=1
	s_or_b64 exec, exec, s[72:73]
	s_mov_b64 s[72:73], 0
.LBB4_59:                               ;   in Loop: Header=BB4_4 Depth=1
	s_andn2_b64 vcc, exec, s[72:73]
	s_cbranch_vccnz .LBB4_3
; %bb.60:                               ;   in Loop: Header=BB4_4 Depth=1
	v_mov_b32_e32 v7, s52
	v_add_co_u32_e32 v6, vcc, s53, v29
	s_add_u32 s72, s5, s85
	v_addc_co_u32_e32 v7, vcc, v30, v7, vcc
	s_addc_u32 s73, s57, s84
	v_mov_b32_e32 v9, s52
	v_add_co_u32_e32 v8, vcc, s53, v27
	v_readlane_b32 s44, v42, 0
	s_add_u32 s74, s92, s51
	v_addc_co_u32_e32 v9, vcc, v28, v9, vcc
	v_readlane_b32 s45, v42, 1
	s_addc_u32 s75, s93, s50
	s_andn2_b64 vcc, exec, s[44:45]
	s_mov_b64 s[76:77], -1
	s_cbranch_vccnz .LBB4_68
; %bb.61:                               ;   in Loop: Header=BB4_4 Depth=1
	s_and_saveexec_b64 s[76:77], s[2:3]
	s_cbranch_execz .LBB4_67
; %bb.62:                               ;   in Loop: Header=BB4_4 Depth=1
	s_lshl_b64 s[44:45], s[62:63], 2
	s_add_u32 s50, s54, s44
	s_addc_u32 s51, s55, s45
	s_mov_b64 s[78:79], 0
	v_pk_mov_b32 v[10:11], v[6:7], v[6:7] op_sel:[0,1]
	v_pk_mov_b32 v[12:13], v[8:9], v[8:9] op_sel:[0,1]
	v_mov_b32_e32 v14, v0
	s_branch .LBB4_64
.LBB4_63:                               ;   in Loop: Header=BB4_64 Depth=2
	v_mov_b32_e32 v35, s55
	v_add_co_u32_e32 v16, vcc, s54, v16
	v_addc_co_u32_e32 v17, vcc, v35, v17, vcc
	s_waitcnt vmcnt(0)
	global_store_dword v[16:17], v15, off
	v_mov_b32_e32 v15, s67
	v_add_co_u32_e32 v12, vcc, s66, v12
	v_add_u32_e32 v14, s4, v14
	v_addc_co_u32_e32 v13, vcc, v13, v15, vcc
	v_cmp_le_i32_e32 vcc, s19, v14
	s_or_b64 s[78:79], vcc, s[78:79]
	v_add_co_u32_e32 v10, vcc, s66, v10
	v_addc_co_u32_e32 v11, vcc, v11, v15, vcc
	s_andn2_b64 exec, exec, s[78:79]
	s_cbranch_execz .LBB4_67
.LBB4_64:                               ;   Parent Loop BB4_4 Depth=1
                                        ; =>  This Loop Header: Depth=2
                                        ;       Child Loop BB4_66 Depth 3
	v_ashrrev_i32_e32 v15, 31, v14
	v_lshlrev_b64 v[16:17], 2, v[14:15]
	v_mov_b32_e32 v15, s51
	v_add_co_u32_e32 v36, vcc, s50, v16
	v_addc_co_u32_e32 v37, vcc, v15, v17, vcc
	global_load_dword v15, v[36:37], off
	s_andn2_b64 vcc, exec, s[46:47]
	s_cbranch_vccnz .LBB4_63
; %bb.65:                               ;   in Loop: Header=BB4_64 Depth=2
	s_mov_b64 s[80:81], 0
	s_mov_b64 s[82:83], s[74:75]
	;; [unrolled: 1-line block ×3, first 2 shown]
	s_mov_b32 s48, s18
.LBB4_66:                               ;   Parent Loop BB4_4 Depth=1
                                        ;     Parent Loop BB4_64 Depth=2
                                        ; =>    This Inner Loop Header: Depth=3
	v_mov_b32_e32 v39, s81
	v_add_co_u32_e32 v36, vcc, s80, v10
	v_addc_co_u32_e32 v37, vcc, v11, v39, vcc
	global_load_dword v35, v33, s[84:85]
	global_load_dword v38, v33, s[82:83]
	global_load_dword v40, v[36:37], off
	s_add_i32 s48, s48, -1
	v_add_co_u32_e32 v36, vcc, s80, v12
	s_sub_u32 s80, s80, s64
	s_subb_u32 s81, s81, s65
	s_add_u32 s84, s84, -4
	s_addc_u32 s85, s85, -1
	s_add_u32 s82, s82, -4
	s_waitcnt vmcnt(3)
	v_mov_b32_e32 v41, v15
	v_addc_co_u32_e32 v37, vcc, v13, v39, vcc
	s_addc_u32 s83, s83, -1
	s_cmp_eq_u32 s48, 0
	s_waitcnt vmcnt(0)
	v_mul_f32_e32 v39, v38, v40
	v_mul_f32_e32 v15, v35, v40
	v_fma_f32 v35, v41, v35, -v39
	v_fmac_f32_e32 v15, v41, v38
	global_store_dword v[36:37], v35, off
	s_cbranch_scc0 .LBB4_66
	s_branch .LBB4_63
.LBB4_67:                               ;   in Loop: Header=BB4_4 Depth=1
	s_or_b64 exec, exec, s[76:77]
	s_mov_b64 s[76:77], 0
.LBB4_68:                               ;   in Loop: Header=BB4_4 Depth=1
	s_andn2_b64 vcc, exec, s[76:77]
	s_cbranch_vccnz .LBB4_3
; %bb.69:                               ;   in Loop: Header=BB4_4 Depth=1
	v_readlane_b32 s44, v42, 2
	v_readlane_b32 s45, v42, 3
	s_andn2_b64 vcc, exec, s[44:45]
	s_mov_b64 s[76:77], -1
	s_cbranch_vccnz .LBB4_76
; %bb.70:                               ;   in Loop: Header=BB4_4 Depth=1
	s_and_saveexec_b64 s[76:77], s[2:3]
	s_cbranch_execz .LBB4_75
; %bb.71:                               ;   in Loop: Header=BB4_4 Depth=1
	v_mov_b32_e32 v11, s52
	v_add_co_u32_e32 v10, vcc, s53, v31
	v_addc_co_u32_e32 v11, vcc, v32, v11, vcc
	s_mov_b64 s[78:79], 0
	v_mov_b32_e32 v12, v0
	s_branch .LBB4_73
.LBB4_72:                               ;   in Loop: Header=BB4_73 Depth=2
	v_add_u32_e32 v12, s4, v12
	v_cmp_le_i32_e32 vcc, s19, v12
	s_waitcnt vmcnt(0)
	global_store_dword v[14:15], v13, off
	v_mov_b32_e32 v13, s67
	s_or_b64 s[78:79], vcc, s[78:79]
	v_add_co_u32_e32 v10, vcc, s66, v10
	v_addc_co_u32_e32 v11, vcc, v11, v13, vcc
	s_andn2_b64 exec, exec, s[78:79]
	s_cbranch_execz .LBB4_75
.LBB4_73:                               ;   Parent Loop BB4_4 Depth=1
                                        ; =>  This Loop Header: Depth=2
                                        ;       Child Loop BB4_74 Depth 3
	v_ashrrev_i32_e32 v13, 31, v12
	v_lshlrev_b64 v[14:15], 2, v[12:13]
	v_mov_b32_e32 v13, s55
	v_add_co_u32_e32 v14, vcc, s54, v14
	v_addc_co_u32_e32 v15, vcc, v13, v15, vcc
	global_load_dword v13, v[14:15], off
	s_andn2_b64 vcc, exec, s[46:47]
	v_pk_mov_b32 v[16:17], v[10:11], v[10:11] op_sel:[0,1]
	s_mov_b32 s48, s18
	s_mov_b64 s[80:81], s[68:69]
	s_mov_b64 s[82:83], s[70:71]
	s_cbranch_vccnz .LBB4_72
.LBB4_74:                               ;   Parent Loop BB4_4 Depth=1
                                        ;     Parent Loop BB4_73 Depth=2
                                        ; =>    This Inner Loop Header: Depth=3
	global_load_dword v35, v33, s[82:83]
	global_load_dword v36, v[16:17], off
	global_load_dword v37, v33, s[80:81]
	s_waitcnt vmcnt(3)
	v_mov_b32_e32 v38, v13
	s_add_u32 s82, s82, 4
	s_addc_u32 s83, s83, 0
	s_add_u32 s80, s80, 4
	v_mov_b32_e32 v39, s65
	s_addc_u32 s81, s81, 0
	s_add_i32 s48, s48, -1
	s_cmp_eq_u32 s48, 0
	s_waitcnt vmcnt(2)
	v_mul_f32_e32 v40, v38, v35
	s_waitcnt vmcnt(1)
	v_mul_f32_e32 v13, v35, v36
	s_waitcnt vmcnt(0)
	v_fma_f32 v35, v37, v36, -v40
	global_store_dword v[16:17], v35, off
	v_add_co_u32_e32 v16, vcc, s64, v16
	v_fmac_f32_e32 v13, v38, v37
	v_addc_co_u32_e32 v17, vcc, v17, v39, vcc
	s_cbranch_scc0 .LBB4_74
	s_branch .LBB4_72
.LBB4_75:                               ;   in Loop: Header=BB4_4 Depth=1
	s_or_b64 exec, exec, s[76:77]
	s_mov_b64 s[76:77], 0
.LBB4_76:                               ;   in Loop: Header=BB4_4 Depth=1
	s_andn2_b64 vcc, exec, s[76:77]
	s_cbranch_vccnz .LBB4_3
; %bb.77:                               ;   in Loop: Header=BB4_4 Depth=1
	v_readlane_b32 s44, v42, 4
	v_readlane_b32 s45, v42, 5
	s_andn2_b64 vcc, exec, s[44:45]
	s_mov_b64 s[76:77], -1
	s_cbranch_vccnz .LBB4_84
; %bb.78:                               ;   in Loop: Header=BB4_4 Depth=1
	s_and_saveexec_b64 s[76:77], s[2:3]
	s_cbranch_execz .LBB4_83
; %bb.79:                               ;   in Loop: Header=BB4_4 Depth=1
	s_mov_b64 s[78:79], 0
	v_mov_b32_e32 v10, v0
	s_branch .LBB4_81
.LBB4_80:                               ;   in Loop: Header=BB4_81 Depth=2
	v_add_u32_e32 v10, s4, v10
	v_cmp_le_i32_e32 vcc, s19, v10
	s_waitcnt vmcnt(0)
	global_store_dword v[12:13], v11, off
	v_mov_b32_e32 v11, s67
	s_or_b64 s[78:79], vcc, s[78:79]
	v_add_co_u32_e32 v8, vcc, s66, v8
	v_addc_co_u32_e32 v9, vcc, v9, v11, vcc
	s_andn2_b64 exec, exec, s[78:79]
	s_cbranch_execz .LBB4_83
.LBB4_81:                               ;   Parent Loop BB4_4 Depth=1
                                        ; =>  This Loop Header: Depth=2
                                        ;       Child Loop BB4_82 Depth 3
	v_ashrrev_i32_e32 v11, 31, v10
	v_lshlrev_b64 v[12:13], 2, v[10:11]
	v_mov_b32_e32 v11, s55
	v_add_co_u32_e32 v12, vcc, s54, v12
	v_addc_co_u32_e32 v13, vcc, v11, v13, vcc
	global_load_dword v11, v[12:13], off
	s_andn2_b64 vcc, exec, s[46:47]
	v_pk_mov_b32 v[14:15], v[8:9], v[8:9] op_sel:[0,1]
	s_mov_b64 s[80:81], s[74:75]
	s_mov_b64 s[82:83], s[72:73]
	s_mov_b32 s48, s21
	s_cbranch_vccnz .LBB4_80
.LBB4_82:                               ;   Parent Loop BB4_4 Depth=1
                                        ;     Parent Loop BB4_81 Depth=2
                                        ; =>    This Inner Loop Header: Depth=3
	global_load_dword v16, v33, s[80:81]
	global_load_dword v17, v[14:15], off
	global_load_dword v35, v33, s[82:83]
	s_add_i32 s48, s48, -1
	s_waitcnt vmcnt(3)
	v_mov_b32_e32 v36, v11
	s_add_u32 s82, s82, -4
	s_addc_u32 s83, s83, -1
	s_add_u32 s80, s80, -4
	v_mov_b32_e32 v37, s95
	s_addc_u32 s81, s81, -1
	s_cmp_lt_u32 s48, 3
	s_waitcnt vmcnt(2)
	v_mul_f32_e32 v38, v36, v16
	s_waitcnt vmcnt(1)
	v_mul_f32_e32 v11, v16, v17
	s_waitcnt vmcnt(0)
	v_fma_f32 v16, v35, v17, -v38
	global_store_dword v[14:15], v16, off
	v_add_co_u32_e32 v14, vcc, s94, v14
	v_fmac_f32_e32 v11, v36, v35
	v_addc_co_u32_e32 v15, vcc, v15, v37, vcc
	s_cbranch_scc0 .LBB4_82
	s_branch .LBB4_80
.LBB4_83:                               ;   in Loop: Header=BB4_4 Depth=1
	s_or_b64 exec, exec, s[76:77]
	s_mov_b64 s[76:77], 0
.LBB4_84:                               ;   in Loop: Header=BB4_4 Depth=1
	s_andn2_b64 vcc, exec, s[76:77]
	s_cbranch_vccnz .LBB4_3
; %bb.85:                               ;   in Loop: Header=BB4_4 Depth=1
	v_readlane_b32 s44, v42, 6
	v_readlane_b32 s45, v42, 7
	s_andn2_b64 vcc, exec, s[44:45]
	s_mov_b64 s[76:77], -1
	s_cbranch_vccnz .LBB4_92
; %bb.86:                               ;   in Loop: Header=BB4_4 Depth=1
	s_and_saveexec_b64 s[76:77], s[2:3]
	s_cbranch_execz .LBB4_91
; %bb.87:                               ;   in Loop: Header=BB4_4 Depth=1
	s_lshl_b64 s[44:45], s[62:63], 2
	s_add_u32 s50, s54, s44
	s_addc_u32 s48, s55, s45
	s_mov_b64 s[78:79], 0
	v_mov_b32_e32 v8, v0
	s_branch .LBB4_89
.LBB4_88:                               ;   in Loop: Header=BB4_89 Depth=2
	v_add_u32_e32 v8, s4, v8
	v_cmp_le_i32_e32 vcc, s19, v8
	s_waitcnt vmcnt(0)
	global_store_dword v[10:11], v9, off
	v_mov_b32_e32 v9, s67
	s_or_b64 s[78:79], vcc, s[78:79]
	v_add_co_u32_e32 v4, vcc, s66, v4
	v_addc_co_u32_e32 v5, vcc, v5, v9, vcc
	s_andn2_b64 exec, exec, s[78:79]
	s_cbranch_execz .LBB4_91
.LBB4_89:                               ;   Parent Loop BB4_4 Depth=1
                                        ; =>  This Loop Header: Depth=2
                                        ;       Child Loop BB4_90 Depth 3
	v_ashrrev_i32_e32 v9, 31, v8
	v_lshlrev_b64 v[10:11], 2, v[8:9]
	v_mov_b32_e32 v9, s48
	v_add_co_u32_e32 v10, vcc, s50, v10
	v_addc_co_u32_e32 v11, vcc, v9, v11, vcc
	global_load_dword v9, v[10:11], off
	s_andn2_b64 vcc, exec, s[46:47]
	v_pk_mov_b32 v[12:13], v[4:5], v[4:5] op_sel:[0,1]
	s_mov_b64 s[80:81], s[70:71]
	s_mov_b64 s[82:83], s[68:69]
	s_mov_b32 s49, s18
	s_cbranch_vccnz .LBB4_88
.LBB4_90:                               ;   Parent Loop BB4_4 Depth=1
                                        ;     Parent Loop BB4_89 Depth=2
                                        ; =>    This Inner Loop Header: Depth=3
	global_load_dword v14, v[12:13], off
	global_load_dword v15, v33, s[82:83]
	global_load_dword v16, v33, s[80:81]
	s_add_i32 s49, s49, -1
	s_add_u32 s82, s82, 4
	s_addc_u32 s83, s83, 0
	s_add_u32 s80, s80, 4
	v_mov_b32_e32 v17, s65
	s_addc_u32 s81, s81, 0
	s_cmp_eq_u32 s49, 0
	s_waitcnt vmcnt(1)
	v_mul_f32_e32 v35, v15, v14
	s_waitcnt vmcnt(0)
	v_fmac_f32_e32 v35, v9, v16
	v_mul_f32_e32 v14, v16, v14
	global_store_dword v[12:13], v35, off
	v_add_co_u32_e32 v12, vcc, s64, v12
	v_fma_f32 v9, v9, v15, -v14
	v_addc_co_u32_e32 v13, vcc, v13, v17, vcc
	s_cbranch_scc0 .LBB4_90
	s_branch .LBB4_88
.LBB4_91:                               ;   in Loop: Header=BB4_4 Depth=1
	s_or_b64 exec, exec, s[76:77]
	s_mov_b64 s[76:77], 0
.LBB4_92:                               ;   in Loop: Header=BB4_4 Depth=1
	s_andn2_b64 vcc, exec, s[76:77]
	s_cbranch_vccnz .LBB4_3
; %bb.93:                               ;   in Loop: Header=BB4_4 Depth=1
	s_mov_b64 s[68:69], exec
	v_readlane_b32 s44, v42, 8
	v_readlane_b32 s45, v42, 9
	s_and_b64 s[44:45], s[68:69], s[44:45]
	s_mov_b64 exec, s[44:45]
	s_cbranch_execz .LBB4_2
; %bb.94:                               ;   in Loop: Header=BB4_4 Depth=1
	s_lshl_b64 s[44:45], s[62:63], 2
	s_add_u32 s50, s54, s44
	s_addc_u32 s48, s55, s45
	s_mov_b64 s[70:71], 0
	v_mov_b32_e32 v4, v0
	s_branch .LBB4_96
.LBB4_95:                               ;   in Loop: Header=BB4_96 Depth=2
	v_add_u32_e32 v4, s4, v4
	v_cmp_le_i32_e32 vcc, s19, v4
	s_waitcnt vmcnt(0)
	global_store_dword v[8:9], v5, off
	v_mov_b32_e32 v5, s67
	s_or_b64 s[70:71], vcc, s[70:71]
	v_add_co_u32_e32 v6, vcc, s66, v6
	v_addc_co_u32_e32 v7, vcc, v7, v5, vcc
	s_andn2_b64 exec, exec, s[70:71]
	s_cbranch_execz .LBB4_2
.LBB4_96:                               ;   Parent Loop BB4_4 Depth=1
                                        ; =>  This Loop Header: Depth=2
                                        ;       Child Loop BB4_97 Depth 3
	v_ashrrev_i32_e32 v5, 31, v4
	v_lshlrev_b64 v[8:9], 2, v[4:5]
	v_mov_b32_e32 v5, s48
	v_add_co_u32_e32 v8, vcc, s50, v8
	v_addc_co_u32_e32 v9, vcc, v5, v9, vcc
	global_load_dword v5, v[8:9], off
	s_andn2_b64 vcc, exec, s[46:47]
	v_pk_mov_b32 v[10:11], v[6:7], v[6:7] op_sel:[0,1]
	s_mov_b64 s[76:77], s[74:75]
	s_mov_b64 s[78:79], s[72:73]
	s_mov_b32 s49, s18
	s_cbranch_vccnz .LBB4_95
.LBB4_97:                               ;   Parent Loop BB4_4 Depth=1
                                        ;     Parent Loop BB4_96 Depth=2
                                        ; =>    This Inner Loop Header: Depth=3
	global_load_dword v12, v[10:11], off
	global_load_dword v13, v33, s[78:79]
	global_load_dword v14, v33, s[76:77]
	s_add_i32 s49, s49, -1
	s_add_u32 s78, s78, -4
	s_addc_u32 s79, s79, -1
	s_add_u32 s76, s76, -4
	v_mov_b32_e32 v15, s95
	s_addc_u32 s77, s77, -1
	s_cmp_eq_u32 s49, 0
	s_waitcnt vmcnt(1)
	v_mul_f32_e32 v16, v13, v12
	s_waitcnt vmcnt(0)
	v_fmac_f32_e32 v16, v5, v14
	v_mul_f32_e32 v12, v14, v12
	global_store_dword v[10:11], v16, off
	v_add_co_u32_e32 v10, vcc, s94, v10
	v_fma_f32 v5, v5, v13, -v12
	v_addc_co_u32_e32 v11, vcc, v11, v15, vcc
	s_cbranch_scc0 .LBB4_97
	s_branch .LBB4_95
.LBB4_98:
	s_endpgm
	.section	.rodata,"a",@progbits
	.p2align	6, 0x0
	.amdhsa_kernel _ZN9rocsolver6v33100L11lasr_kernelIffPfiEEv13rocblas_side_14rocblas_pivot_15rocblas_direct_T2_S6_PT0_lS8_lT1_lS6_lS6_
		.amdhsa_group_segment_fixed_size 0
		.amdhsa_private_segment_fixed_size 0
		.amdhsa_kernarg_size 352
		.amdhsa_user_sgpr_count 6
		.amdhsa_user_sgpr_private_segment_buffer 1
		.amdhsa_user_sgpr_dispatch_ptr 0
		.amdhsa_user_sgpr_queue_ptr 0
		.amdhsa_user_sgpr_kernarg_segment_ptr 1
		.amdhsa_user_sgpr_dispatch_id 0
		.amdhsa_user_sgpr_flat_scratch_init 0
		.amdhsa_user_sgpr_kernarg_preload_length 0
		.amdhsa_user_sgpr_kernarg_preload_offset 0
		.amdhsa_user_sgpr_private_segment_size 0
		.amdhsa_uses_dynamic_stack 0
		.amdhsa_system_sgpr_private_segment_wavefront_offset 0
		.amdhsa_system_sgpr_workgroup_id_x 1
		.amdhsa_system_sgpr_workgroup_id_y 0
		.amdhsa_system_sgpr_workgroup_id_z 1
		.amdhsa_system_sgpr_workgroup_info 0
		.amdhsa_system_vgpr_workitem_id 0
		.amdhsa_next_free_vgpr 43
		.amdhsa_next_free_sgpr 96
		.amdhsa_accum_offset 44
		.amdhsa_reserve_vcc 1
		.amdhsa_reserve_flat_scratch 0
		.amdhsa_float_round_mode_32 0
		.amdhsa_float_round_mode_16_64 0
		.amdhsa_float_denorm_mode_32 3
		.amdhsa_float_denorm_mode_16_64 3
		.amdhsa_dx10_clamp 1
		.amdhsa_ieee_mode 1
		.amdhsa_fp16_overflow 0
		.amdhsa_tg_split 0
		.amdhsa_exception_fp_ieee_invalid_op 0
		.amdhsa_exception_fp_denorm_src 0
		.amdhsa_exception_fp_ieee_div_zero 0
		.amdhsa_exception_fp_ieee_overflow 0
		.amdhsa_exception_fp_ieee_underflow 0
		.amdhsa_exception_fp_ieee_inexact 0
		.amdhsa_exception_int_div_zero 0
	.end_amdhsa_kernel
	.section	.text._ZN9rocsolver6v33100L11lasr_kernelIffPfiEEv13rocblas_side_14rocblas_pivot_15rocblas_direct_T2_S6_PT0_lS8_lT1_lS6_lS6_,"axG",@progbits,_ZN9rocsolver6v33100L11lasr_kernelIffPfiEEv13rocblas_side_14rocblas_pivot_15rocblas_direct_T2_S6_PT0_lS8_lT1_lS6_lS6_,comdat
.Lfunc_end4:
	.size	_ZN9rocsolver6v33100L11lasr_kernelIffPfiEEv13rocblas_side_14rocblas_pivot_15rocblas_direct_T2_S6_PT0_lS8_lT1_lS6_lS6_, .Lfunc_end4-_ZN9rocsolver6v33100L11lasr_kernelIffPfiEEv13rocblas_side_14rocblas_pivot_15rocblas_direct_T2_S6_PT0_lS8_lT1_lS6_lS6_
                                        ; -- End function
	.section	.AMDGPU.csdata,"",@progbits
; Kernel info:
; codeLenInByte = 4508
; NumSgprs: 100
; NumVgprs: 43
; NumAgprs: 0
; TotalNumVgprs: 43
; ScratchSize: 0
; MemoryBound: 0
; FloatMode: 240
; IeeeMode: 1
; LDSByteSize: 0 bytes/workgroup (compile time only)
; SGPRBlocks: 12
; VGPRBlocks: 5
; NumSGPRsForWavesPerEU: 100
; NumVGPRsForWavesPerEU: 43
; AccumOffset: 44
; Occupancy: 8
; WaveLimiterHint : 0
; COMPUTE_PGM_RSRC2:SCRATCH_EN: 0
; COMPUTE_PGM_RSRC2:USER_SGPR: 6
; COMPUTE_PGM_RSRC2:TRAP_HANDLER: 0
; COMPUTE_PGM_RSRC2:TGID_X_EN: 1
; COMPUTE_PGM_RSRC2:TGID_Y_EN: 0
; COMPUTE_PGM_RSRC2:TGID_Z_EN: 1
; COMPUTE_PGM_RSRC2:TIDIG_COMP_CNT: 0
; COMPUTE_PGM_RSRC3_GFX90A:ACCUM_OFFSET: 10
; COMPUTE_PGM_RSRC3_GFX90A:TG_SPLIT: 0
	.section	.text._ZN9rocsolver6v33100L11swap_kernelIfiEEvT0_PT_S2_S4_S2_,"axG",@progbits,_ZN9rocsolver6v33100L11swap_kernelIfiEEvT0_PT_S2_S4_S2_,comdat
	.globl	_ZN9rocsolver6v33100L11swap_kernelIfiEEvT0_PT_S2_S4_S2_ ; -- Begin function _ZN9rocsolver6v33100L11swap_kernelIfiEEvT0_PT_S2_S4_S2_
	.p2align	8
	.type	_ZN9rocsolver6v33100L11swap_kernelIfiEEvT0_PT_S2_S4_S2_,@function
_ZN9rocsolver6v33100L11swap_kernelIfiEEvT0_PT_S2_S4_S2_: ; @_ZN9rocsolver6v33100L11swap_kernelIfiEEvT0_PT_S2_S4_S2_
; %bb.0:
	s_load_dword s16, s[4:5], 0x0
	s_waitcnt lgkmcnt(0)
	s_cmp_lt_i32 s16, 1
	s_cbranch_scc1 .LBB5_10
; %bb.1:
	s_load_dword s0, s[4:5], 0x28
	s_load_dword s1, s[4:5], 0x34
	s_load_dwordx2 s[2:3], s[4:5], 0x8
	s_load_dword s12, s[4:5], 0x10
	s_load_dwordx2 s[8:9], s[4:5], 0x18
	s_load_dword s10, s[4:5], 0x20
	s_waitcnt lgkmcnt(0)
	s_and_b32 s1, s1, 0xffff
	s_mul_i32 s6, s6, s1
	s_cmp_eq_u32 s12, 1
	s_mul_i32 s4, s0, s1
	s_cselect_b64 s[0:1], -1, 0
	s_cmp_eq_u32 s10, 1
	v_add_u32_e32 v0, s6, v0
	s_cselect_b64 s[6:7], -1, 0
	s_and_b64 s[14:15], s[0:1], s[6:7]
	v_cmp_gt_i32_e64 s[0:1], s16, v0
	s_mov_b64 s[6:7], -1
	s_and_b64 vcc, exec, s[14:15]
	s_cbranch_vccnz .LBB5_6
; %bb.2:
	s_and_saveexec_b64 s[6:7], s[0:1]
	s_cbranch_execz .LBB5_5
; %bb.3:
	v_mad_i64_i32 v[2:3], s[14:15], s10, v0, 0
	v_lshlrev_b64 v[2:3], 2, v[2:3]
	v_mov_b32_e32 v1, s9
	v_add_co_u32_e32 v2, vcc, s8, v2
	v_mad_i64_i32 v[4:5], s[14:15], s12, v0, 0
	v_addc_co_u32_e32 v3, vcc, v1, v3, vcc
	s_mul_hi_i32 s11, s10, s4
	s_mul_i32 s10, s10, s4
	v_lshlrev_b64 v[4:5], 2, v[4:5]
	s_mul_hi_i32 s13, s12, s4
	s_mul_i32 s12, s12, s4
	s_lshl_b64 s[10:11], s[10:11], 2
	v_mov_b32_e32 v1, s3
	v_add_co_u32_e32 v4, vcc, s2, v4
	s_lshl_b64 s[12:13], s[12:13], 2
	v_addc_co_u32_e32 v5, vcc, v1, v5, vcc
	s_mov_b64 s[14:15], 0
	v_mov_b32_e32 v1, s11
	v_mov_b32_e32 v6, s13
	;; [unrolled: 1-line block ×3, first 2 shown]
.LBB5_4:                                ; =>This Inner Loop Header: Depth=1
	global_load_dword v8, v[4:5], off
	global_load_dword v9, v[2:3], off
	v_add_u32_e32 v7, s4, v7
	v_cmp_le_i32_e32 vcc, s16, v7
	s_or_b64 s[14:15], vcc, s[14:15]
	s_waitcnt vmcnt(1)
	global_store_dword v[2:3], v8, off
	s_waitcnt vmcnt(1)
	global_store_dword v[4:5], v9, off
	v_add_co_u32_e32 v2, vcc, s10, v2
	v_addc_co_u32_e32 v3, vcc, v3, v1, vcc
	v_add_co_u32_e32 v4, vcc, s12, v4
	v_addc_co_u32_e32 v5, vcc, v5, v6, vcc
	s_andn2_b64 exec, exec, s[14:15]
	s_cbranch_execnz .LBB5_4
.LBB5_5:
	s_or_b64 exec, exec, s[6:7]
	s_mov_b64 s[6:7], 0
.LBB5_6:
	s_andn2_b64 vcc, exec, s[6:7]
	s_cbranch_vccnz .LBB5_10
; %bb.7:
	s_and_saveexec_b64 s[6:7], s[0:1]
	s_cbranch_execz .LBB5_10
; %bb.8:
	s_ashr_i32 s5, s4, 31
	v_ashrrev_i32_e32 v1, 31, v0
	s_lshl_b64 s[0:1], s[4:5], 2
	v_lshlrev_b64 v[2:3], 2, v[0:1]
	s_mov_b64 s[6:7], 0
	v_mov_b32_e32 v1, s9
	v_mov_b32_e32 v4, s3
	;; [unrolled: 1-line block ×3, first 2 shown]
.LBB5_9:                                ; =>This Inner Loop Header: Depth=1
	v_add_co_u32_e32 v6, vcc, s8, v2
	v_addc_co_u32_e32 v7, vcc, v1, v3, vcc
	v_add_co_u32_e32 v8, vcc, s2, v2
	v_addc_co_u32_e32 v9, vcc, v4, v3, vcc
	global_load_dword v10, v[8:9], off
	global_load_dword v11, v[6:7], off
	v_add_co_u32_e32 v2, vcc, s0, v2
	v_add_u32_e32 v0, s4, v0
	v_addc_co_u32_e32 v3, vcc, v3, v5, vcc
	v_cmp_le_i32_e32 vcc, s16, v0
	s_or_b64 s[6:7], vcc, s[6:7]
	s_waitcnt vmcnt(1)
	global_store_dword v[6:7], v10, off
	s_waitcnt vmcnt(1)
	global_store_dword v[8:9], v11, off
	s_andn2_b64 exec, exec, s[6:7]
	s_cbranch_execnz .LBB5_9
.LBB5_10:
	s_endpgm
	.section	.rodata,"a",@progbits
	.p2align	6, 0x0
	.amdhsa_kernel _ZN9rocsolver6v33100L11swap_kernelIfiEEvT0_PT_S2_S4_S2_
		.amdhsa_group_segment_fixed_size 0
		.amdhsa_private_segment_fixed_size 0
		.amdhsa_kernarg_size 296
		.amdhsa_user_sgpr_count 6
		.amdhsa_user_sgpr_private_segment_buffer 1
		.amdhsa_user_sgpr_dispatch_ptr 0
		.amdhsa_user_sgpr_queue_ptr 0
		.amdhsa_user_sgpr_kernarg_segment_ptr 1
		.amdhsa_user_sgpr_dispatch_id 0
		.amdhsa_user_sgpr_flat_scratch_init 0
		.amdhsa_user_sgpr_kernarg_preload_length 0
		.amdhsa_user_sgpr_kernarg_preload_offset 0
		.amdhsa_user_sgpr_private_segment_size 0
		.amdhsa_uses_dynamic_stack 0
		.amdhsa_system_sgpr_private_segment_wavefront_offset 0
		.amdhsa_system_sgpr_workgroup_id_x 1
		.amdhsa_system_sgpr_workgroup_id_y 0
		.amdhsa_system_sgpr_workgroup_id_z 0
		.amdhsa_system_sgpr_workgroup_info 0
		.amdhsa_system_vgpr_workitem_id 0
		.amdhsa_next_free_vgpr 12
		.amdhsa_next_free_sgpr 17
		.amdhsa_accum_offset 12
		.amdhsa_reserve_vcc 1
		.amdhsa_reserve_flat_scratch 0
		.amdhsa_float_round_mode_32 0
		.amdhsa_float_round_mode_16_64 0
		.amdhsa_float_denorm_mode_32 3
		.amdhsa_float_denorm_mode_16_64 3
		.amdhsa_dx10_clamp 1
		.amdhsa_ieee_mode 1
		.amdhsa_fp16_overflow 0
		.amdhsa_tg_split 0
		.amdhsa_exception_fp_ieee_invalid_op 0
		.amdhsa_exception_fp_denorm_src 0
		.amdhsa_exception_fp_ieee_div_zero 0
		.amdhsa_exception_fp_ieee_overflow 0
		.amdhsa_exception_fp_ieee_underflow 0
		.amdhsa_exception_fp_ieee_inexact 0
		.amdhsa_exception_int_div_zero 0
	.end_amdhsa_kernel
	.section	.text._ZN9rocsolver6v33100L11swap_kernelIfiEEvT0_PT_S2_S4_S2_,"axG",@progbits,_ZN9rocsolver6v33100L11swap_kernelIfiEEvT0_PT_S2_S4_S2_,comdat
.Lfunc_end5:
	.size	_ZN9rocsolver6v33100L11swap_kernelIfiEEvT0_PT_S2_S4_S2_, .Lfunc_end5-_ZN9rocsolver6v33100L11swap_kernelIfiEEvT0_PT_S2_S4_S2_
                                        ; -- End function
	.section	.AMDGPU.csdata,"",@progbits
; Kernel info:
; codeLenInByte = 460
; NumSgprs: 21
; NumVgprs: 12
; NumAgprs: 0
; TotalNumVgprs: 12
; ScratchSize: 0
; MemoryBound: 0
; FloatMode: 240
; IeeeMode: 1
; LDSByteSize: 0 bytes/workgroup (compile time only)
; SGPRBlocks: 2
; VGPRBlocks: 1
; NumSGPRsForWavesPerEU: 21
; NumVGPRsForWavesPerEU: 12
; AccumOffset: 12
; Occupancy: 8
; WaveLimiterHint : 0
; COMPUTE_PGM_RSRC2:SCRATCH_EN: 0
; COMPUTE_PGM_RSRC2:USER_SGPR: 6
; COMPUTE_PGM_RSRC2:TRAP_HANDLER: 0
; COMPUTE_PGM_RSRC2:TGID_X_EN: 1
; COMPUTE_PGM_RSRC2:TGID_Y_EN: 0
; COMPUTE_PGM_RSRC2:TGID_Z_EN: 0
; COMPUTE_PGM_RSRC2:TIDIG_COMP_CNT: 0
; COMPUTE_PGM_RSRC3_GFX90A:ACCUM_OFFSET: 2
; COMPUTE_PGM_RSRC3_GFX90A:TG_SPLIT: 0
	.text
	.p2align	2                               ; -- Begin function _ZN9rocsolver6v331009run_steqrIffEEviiiPT0_S3_PT_iPiS3_iS2_S2_S2_b
	.type	_ZN9rocsolver6v331009run_steqrIffEEviiiPT0_S3_PT_iPiS3_iS2_S2_S2_b,@function
_ZN9rocsolver6v331009run_steqrIffEEviiiPT0_S3_PT_iPiS3_iS2_S2_S2_b: ; @_ZN9rocsolver6v331009run_steqrIffEEviiiPT0_S3_PT_iPiS3_iS2_S2_S2_b
; %bb.0:
	s_waitcnt vmcnt(0) expcnt(0) lgkmcnt(0)
	s_or_saveexec_b64 s[4:5], -1
	buffer_store_dword v63, off, s[0:3], s32 offset:72 ; 4-byte Folded Spill
	s_mov_b64 exec, s[4:5]
	buffer_store_dword v40, off, s[0:3], s32 offset:68 ; 4-byte Folded Spill
	buffer_store_dword v41, off, s[0:3], s32 offset:64 ; 4-byte Folded Spill
	;; [unrolled: 1-line block ×17, first 2 shown]
	buffer_store_dword a35, off, s[0:3], s32 ; 4-byte Folded Spill
	v_writelane_b32 v63, s34, 0
	v_writelane_b32 v63, s35, 1
	v_writelane_b32 v63, s36, 2
	v_writelane_b32 v63, s37, 3
	v_writelane_b32 v63, s38, 4
	v_writelane_b32 v63, s39, 5
	v_writelane_b32 v63, s40, 6
	v_writelane_b32 v63, s41, 7
	v_writelane_b32 v63, s42, 8
	v_writelane_b32 v63, s43, 9
	v_writelane_b32 v63, s44, 10
	v_writelane_b32 v63, s45, 11
	v_writelane_b32 v63, s46, 12
	v_writelane_b32 v63, s47, 13
	v_writelane_b32 v63, s48, 14
	v_writelane_b32 v63, s30, 15
	v_writelane_b32 v63, s31, 16
	v_accvgpr_write_b32 a15, v11
	v_mov_b32_e32 v22, v1
	v_and_b32_e32 v1, 1, v18
	v_mov_b32_e32 v58, v17
	v_mov_b32_e32 v59, v15
	;; [unrolled: 1-line block ×3, first 2 shown]
	v_accvgpr_write_b32 a14, v10
	v_mov_b32_e32 v20, v9
	v_accvgpr_write_b32 a18, v8
	v_mov_b32_e32 v29, v7
	v_mov_b32_e32 v62, v6
	;; [unrolled: 1-line block ×3, first 2 shown]
	v_cmp_eq_u32_e64 s[6:7], 1, v1
	v_cmp_eq_u32_e64 s[4:5], 0, v0
	s_and_saveexec_b64 s[8:9], s[4:5]
	s_cbranch_execz .LBB6_2
; %bb.1:
	v_mov_b32_e32 v1, 0
	ds_write2_b32 v1, v1, v1 offset0:3 offset1:7
.LBB6_2:
	s_or_b64 exec, exec, s[8:9]
	v_mov_b32_e32 v25, 0
	s_waitcnt lgkmcnt(0)
	s_barrier
	ds_read2_b32 v[54:55], v25 offset0:3 offset1:7
	v_add_u32_e32 v56, -1, v2
	s_waitcnt lgkmcnt(0)
	v_cmp_lt_i32_e32 vcc, v54, v2
	v_cmp_lt_i32_e64 s[8:9], v55, v14
	s_and_b64 s[8:9], vcc, s[8:9]
	s_and_saveexec_b64 s[16:17], s[8:9]
	s_cbranch_execz .LBB6_222
; %bb.3:
	v_add_co_u32_e32 v61, vcc, -4, v5
	v_addc_co_u32_e32 v1, vcc, -1, v62, vcc
	v_accvgpr_write_b32 a24, v1
	v_add_co_u32_e32 v1, vcc, -4, v60
	v_accvgpr_write_b32 a25, v1
	v_addc_co_u32_e32 v1, vcc, -1, v13, vcc
	v_accvgpr_write_b32 a26, v1
	v_ashrrev_i32_e32 v57, 31, v56
	v_add_co_u32_e32 v1, vcc, -4, v9
	v_lshlrev_b64 v[6:7], 2, v[56:57]
	v_accvgpr_write_b32 a27, v1
	v_addc_co_u32_e32 v1, vcc, -1, v4, vcc
	v_accvgpr_write_b32 a29, v7
	v_accvgpr_write_b32 a30, v1
	v_ashrrev_i32_e32 v1, 31, v0
	v_accvgpr_write_b32 a28, v6
	v_lshlrev_b64 v[6:7], 2, v[0:1]
	v_ashrrev_i32_e32 v21, 31, v20
	v_add_co_u32_e32 v1, vcc, v29, v6
	v_accvgpr_read_b32 v6, a18
	v_accvgpr_write_b32 a31, v1
	v_addc_co_u32_e32 v1, vcc, v6, v7, vcc
	v_lshlrev_b64 v[30:31], 2, v[20:21]
	v_ashrrev_i32_e32 v3, 31, v2
	v_accvgpr_write_b32 a32, v1
	v_sub_co_u32_e32 v1, vcc, 0, v30
	v_subb_co_u32_e32 v17, vcc, 0, v31, vcc
	v_lshlrev_b64 v[32:33], 2, v[2:3]
	v_ashrrev_i32_e32 v23, 31, v22
	v_add_co_u32_e32 v3, vcc, -4, v32
	s_mov_b32 s20, 0x667f3bcd
	s_mov_b32 s22, 0.5
	v_mul_f32_e32 v11, v59, v59
	v_cmp_lt_i32_e64 s[8:9], v0, v2
	v_lshlrev_b64 v[26:27], 2, v[22:23]
	s_mov_b64 s[18:19], 0
	v_accvgpr_write_b32 a20, v14
	v_accvgpr_write_b32 a21, v13
	v_mov_b32_e32 v32, v14
	v_addc_co_u32_e32 v23, vcc, -1, v33, vcc
	v_mov_b32_e32 v33, v13
	s_mov_b32 s46, 0xf800000
	s_mov_b32 s47, 0x4f800000
	v_mov_b32_e32 v8, 0x260
	s_mov_b32 s21, 0x3ff6a09e
	s_mov_b32 s23, -0.5
	v_accvgpr_mov_b32 a7, a18
	v_accvgpr_write_b32 a12, v29
                                        ; implicit-def: $vgpr18_vgpr19
                                        ; implicit-def: $vgpr34_vgpr35
                                        ; implicit-def: $agpr2_agpr3
                                        ; implicit-def: $vgpr10
                                        ; implicit-def: $vgpr36_vgpr37
                                        ; implicit-def: $agpr10_agpr11
                                        ; implicit-def: $agpr6
                                        ; implicit-def: $agpr8_agpr9
                                        ; implicit-def: $agpr4_agpr5
	s_branch .LBB6_6
.LBB6_4:                                ;   in Loop: Header=BB6_6 Depth=1
	s_or_b64 exec, exec, s[10:11]
	v_accvgpr_mov_b32 a5, a1
	v_accvgpr_write_b32 a8, v42
	v_accvgpr_read_b32 v18, a34
	v_accvgpr_mov_b32 a4, a0
	v_accvgpr_write_b32 a9, v43
	v_accvgpr_write_b32 a6, v55
	v_accvgpr_read_b32 v19, a35
	s_waitcnt lgkmcnt(0)
	s_barrier
.LBB6_5:                                ;   in Loop: Header=BB6_6 Depth=1
	ds_read2_b32 v[54:55], v25 offset0:3 offset1:7
	s_waitcnt lgkmcnt(0)
	v_cmp_ge_i32_e32 vcc, v54, v2
	v_cmp_ge_i32_e64 s[10:11], v55, v32
	s_or_b64 s[10:11], vcc, s[10:11]
	s_and_b64 s[10:11], exec, s[10:11]
	s_or_b64 s[18:19], s[10:11], s[18:19]
	s_andn2_b64 exec, exec, s[18:19]
	s_cbranch_execz .LBB6_222
.LBB6_6:                                ; =>This Loop Header: Depth=1
                                        ;     Child Loop BB6_121 Depth 2
                                        ;     Child Loop BB6_19 Depth 2
                                        ;     Child Loop BB6_29 Depth 2
                                        ;     Child Loop BB6_36 Depth 2
                                        ;     Child Loop BB6_43 Depth 2
                                        ;       Child Loop BB6_49 Depth 3
                                        ;       Child Loop BB6_69 Depth 3
	;; [unrolled: 1-line block ×3, first 2 shown]
                                        ;         Child Loop BB6_117 Depth 4
                                        ;     Child Loop BB6_132 Depth 2
                                        ;       Child Loop BB6_138 Depth 3
                                        ;       Child Loop BB6_158 Depth 3
                                        ;       Child Loop BB6_205 Depth 3
                                        ;         Child Loop BB6_206 Depth 4
                                        ;     Child Loop BB6_215 Depth 2
                                        ;     Child Loop BB6_221 Depth 2
	s_and_saveexec_b64 s[12:13], s[4:5]
	s_cbranch_execz .LBB6_22
; %bb.7:                                ;   in Loop: Header=BB6_6 Depth=1
	v_cmp_gt_i32_e32 vcc, 1, v54
	s_cbranch_vccnz .LBB6_9
; %bb.8:                                ;   in Loop: Header=BB6_6 Depth=1
	v_mov_b32_e32 v55, v25
	v_lshlrev_b64 v[38:39], 2, v[54:55]
	v_add_co_u32_e32 v38, vcc, v61, v38
	v_accvgpr_read_b32 v6, a24
	v_addc_co_u32_e32 v39, vcc, v6, v39, vcc
	flat_store_dword v[38:39], v25
.LBB6_9:                                ;   in Loop: Header=BB6_6 Depth=1
	v_cmp_ge_i32_e32 vcc, v54, v56
	s_mov_b64 s[10:11], 0
	v_ashrrev_i32_e32 v55, 31, v54
	s_mov_b64 s[14:15], 0
                                        ; implicit-def: $vgpr48_vgpr49
	s_and_saveexec_b64 s[24:25], vcc
	s_xor_b64 s[24:25], exec, s[24:25]
; %bb.10:                               ;   in Loop: Header=BB6_6 Depth=1
	s_mov_b64 s[14:15], exec
	v_pk_mov_b32 v[48:49], v[54:55], v[54:55] op_sel:[0,1]
; %bb.11:                               ;   in Loop: Header=BB6_6 Depth=1
	s_or_saveexec_b64 s[24:25], s[24:25]
	v_mov_b32_e32 v24, v54
	v_pk_mov_b32 v[50:51], v[48:49], v[48:49] op_sel:[0,1]
	s_xor_b64 exec, exec, s[24:25]
	s_cbranch_execnz .LBB6_119
; %bb.12:                               ;   in Loop: Header=BB6_6 Depth=1
	s_or_b64 exec, exec, s[24:25]
	s_and_saveexec_b64 s[24:25], s[14:15]
	s_cbranch_execnz .LBB6_125
.LBB6_13:                               ;   in Loop: Header=BB6_6 Depth=1
	s_or_b64 exec, exec, s[24:25]
	s_and_saveexec_b64 s[14:15], s[10:11]
	s_cbranch_execz .LBB6_15
.LBB6_14:                               ;   in Loop: Header=BB6_6 Depth=1
	v_accvgpr_read_b32 v51, a3
	v_accvgpr_read_b32 v50, a2
	v_pk_mov_b32 v[48:49], v[18:19], v[18:19] op_sel:[0,1]
	v_mov_b32_e32 v24, v18
	ds_write_b32 v25, v18 offset:4
	flat_store_dword v[34:35], v25
.LBB6_15:                               ;   in Loop: Header=BB6_6 Depth=1
	s_or_b64 exec, exec, s[14:15]
	v_lshlrev_b64 v[38:39], 2, v[48:49]
	v_add_co_u32_e32 v38, vcc, v9, v38
	v_addc_co_u32_e32 v39, vcc, v4, v39, vcc
	v_lshlrev_b64 v[50:51], 2, v[50:51]
	v_add_co_u32_e32 v48, vcc, v9, v50
	v_addc_co_u32_e32 v49, vcc, v4, v51, vcc
	flat_load_dword v38, v[38:39]
	s_nop 0
	flat_load_dword v6, v[48:49]
	v_add_u32_e32 v7, 1, v24
	ds_write2_b32 v25, v54, v24 offset1:5
	ds_write_b32 v25, v24 offset:32
	ds_write2_b32 v25, v7, v54 offset0:3 offset1:4
	s_waitcnt vmcnt(0) lgkmcnt(0)
	v_cmp_lt_f32_e64 s[14:15], |v38|, |v6|
	s_and_saveexec_b64 s[10:11], s[14:15]
	s_cbranch_execz .LBB6_17
; %bb.16:                               ;   in Loop: Header=BB6_6 Depth=1
	ds_write2_b32 v25, v24, v54 offset1:5
.LBB6_17:                               ;   in Loop: Header=BB6_6 Depth=1
	s_or_b64 exec, exec, s[10:11]
	v_and_b32_e32 v38, 0x7fffffff, v38
	v_cmp_lt_i32_e32 vcc, v54, v24
	s_and_saveexec_b64 s[10:11], vcc
	s_cbranch_execz .LBB6_21
; %bb.18:                               ;   in Loop: Header=BB6_6 Depth=1
	v_add_co_u32_e32 v50, vcc, v5, v50
	v_addc_co_u32_e32 v51, vcc, v62, v51, vcc
	s_mov_b64 s[14:15], 0
.LBB6_19:                               ;   Parent Loop BB6_6 Depth=1
                                        ; =>  This Inner Loop Header: Depth=2
	flat_load_dword v6, v[48:49]
	flat_load_dword v7, v[50:51]
	v_add_co_u32_e32 v50, vcc, 4, v50
	v_addc_co_u32_e32 v51, vcc, 0, v51, vcc
	v_add_co_u32_e32 v48, vcc, 4, v48
	v_add_u32_e32 v54, 1, v54
	v_addc_co_u32_e32 v49, vcc, 0, v49, vcc
	v_cmp_ge_i32_e32 vcc, v54, v24
	s_or_b64 s[14:15], vcc, s[14:15]
	s_waitcnt vmcnt(0) lgkmcnt(0)
	v_max3_f32 v38, v38, |v6|, |v7|
	s_andn2_b64 exec, exec, s[14:15]
	s_cbranch_execnz .LBB6_19
; %bb.20:                               ;   in Loop: Header=BB6_6 Depth=1
	s_or_b64 exec, exec, s[14:15]
.LBB6_21:                               ;   in Loop: Header=BB6_6 Depth=1
	s_or_b64 exec, exec, s[10:11]
	ds_write_b32 v25, v38 offset:24
.LBB6_22:                               ;   in Loop: Header=BB6_6 Depth=1
	s_or_b64 exec, exec, s[12:13]
	s_waitcnt lgkmcnt(0)
	s_barrier
	ds_read2_b32 v[50:51], v25 offset0:5 offset1:6
	ds_read_b32 v6, v25
	s_waitcnt lgkmcnt(0)
	v_cmp_eq_f32_e64 s[10:11], 0, v51
	s_waitcnt lgkmcnt(0)
	v_cmp_eq_u32_e32 vcc, v50, v6
	s_or_b64 s[10:11], vcc, s[10:11]
	s_and_b64 vcc, exec, s[10:11]
	s_cbranch_vccnz .LBB6_5
; %bb.23:                               ;   in Loop: Header=BB6_6 Depth=1
	v_cmp_ngt_f32_e32 vcc, v51, v58
	s_and_saveexec_b64 s[10:11], vcc
	s_xor_b64 s[10:11], exec, s[10:11]
	s_cbranch_execz .LBB6_31
; %bb.24:                               ;   in Loop: Header=BB6_6 Depth=1
	v_cmp_lt_f32_e32 vcc, v51, v16
	s_and_saveexec_b64 s[12:13], vcc
	s_cbranch_execz .LBB6_30
; %bb.25:                               ;   in Loop: Header=BB6_6 Depth=1
	v_div_scale_f32 v6, s[14:15], v16, v16, v51
	v_rcp_f32_e32 v7, v6
	ds_read2_b32 v[48:49], v25 offset0:4 offset1:8
	v_fma_f32 v12, -v6, v7, 1.0
	v_fmac_f32_e32 v7, v12, v7
	v_div_scale_f32 v12, vcc, v51, v16, v51
	v_mul_f32_e32 v13, v12, v7
	v_fma_f32 v14, -v6, v13, v12
	v_fmac_f32_e32 v13, v14, v7
	v_fma_f32 v6, -v6, v13, v12
	v_div_fmas_f32 v6, v6, v7, v13
	v_div_fixup_f32 v24, v6, v16, v51
	s_and_saveexec_b64 s[14:15], s[4:5]
	s_cbranch_execz .LBB6_27
; %bb.26:                               ;   in Loop: Header=BB6_6 Depth=1
	s_waitcnt lgkmcnt(0)
	v_ashrrev_i32_e32 v39, 31, v49
	v_mov_b32_e32 v38, v49
	v_lshlrev_b64 v[38:39], 2, v[38:39]
	v_add_co_u32_e32 v38, vcc, v9, v38
	v_addc_co_u32_e32 v39, vcc, v4, v39, vcc
	flat_load_dword v6, v[38:39]
	s_waitcnt vmcnt(0) lgkmcnt(0)
	v_mul_f32_e32 v6, v24, v6
	flat_store_dword v[38:39], v6
.LBB6_27:                               ;   in Loop: Header=BB6_6 Depth=1
	s_or_b64 exec, exec, s[14:15]
	s_waitcnt lgkmcnt(0)
	v_add_u32_e32 v50, v48, v0
	v_cmp_lt_i32_e32 vcc, v50, v49
	s_and_b64 exec, exec, vcc
	s_cbranch_execz .LBB6_30
; %bb.28:                               ;   in Loop: Header=BB6_6 Depth=1
	v_ashrrev_i32_e32 v51, 31, v50
	v_lshlrev_b64 v[54:55], 2, v[50:51]
	s_mov_b64 s[14:15], 0
.LBB6_29:                               ;   Parent Loop BB6_6 Depth=1
                                        ; =>  This Inner Loop Header: Depth=2
	v_add_co_u32_e32 v38, vcc, v9, v54
	v_addc_co_u32_e32 v39, vcc, v4, v55, vcc
	flat_load_dword v6, v[38:39]
	v_add_co_u32_e32 v52, vcc, v5, v54
	v_addc_co_u32_e32 v53, vcc, v62, v55, vcc
	v_add_co_u32_e32 v54, vcc, v54, v26
	v_add_u32_e32 v50, v50, v22
	v_addc_co_u32_e32 v55, vcc, v55, v27, vcc
	v_cmp_ge_i32_e32 vcc, v50, v49
	s_or_b64 s[14:15], vcc, s[14:15]
	s_waitcnt vmcnt(0) lgkmcnt(0)
	v_mul_f32_e32 v6, v24, v6
	flat_store_dword v[38:39], v6
	flat_load_dword v6, v[52:53]
	s_waitcnt vmcnt(0) lgkmcnt(0)
	v_mul_f32_e32 v6, v24, v6
	flat_store_dword v[52:53], v6
	s_andn2_b64 exec, exec, s[14:15]
	s_cbranch_execnz .LBB6_29
.LBB6_30:                               ;   in Loop: Header=BB6_6 Depth=1
	s_or_b64 exec, exec, s[12:13]
                                        ; implicit-def: $vgpr50_vgpr51
.LBB6_31:                               ;   in Loop: Header=BB6_6 Depth=1
	s_andn2_saveexec_b64 s[10:11], s[10:11]
	s_cbranch_execz .LBB6_38
; %bb.32:                               ;   in Loop: Header=BB6_6 Depth=1
	v_div_scale_f32 v6, s[12:13], v58, v58, v51
	v_rcp_f32_e32 v7, v6
	ds_read2_b32 v[48:49], v25 offset0:4 offset1:8
	v_fma_f32 v12, -v6, v7, 1.0
	v_fmac_f32_e32 v7, v12, v7
	v_div_scale_f32 v12, vcc, v51, v58, v51
	v_mul_f32_e32 v13, v12, v7
	v_fma_f32 v14, -v6, v13, v12
	v_fmac_f32_e32 v13, v14, v7
	v_fma_f32 v6, -v6, v13, v12
	v_div_fmas_f32 v6, v6, v7, v13
	v_div_fixup_f32 v24, v6, v58, v51
	s_and_saveexec_b64 s[12:13], s[4:5]
	s_cbranch_execz .LBB6_34
; %bb.33:                               ;   in Loop: Header=BB6_6 Depth=1
	s_waitcnt lgkmcnt(0)
	v_ashrrev_i32_e32 v39, 31, v49
	v_mov_b32_e32 v38, v49
	v_lshlrev_b64 v[38:39], 2, v[38:39]
	v_add_co_u32_e32 v38, vcc, v9, v38
	v_addc_co_u32_e32 v39, vcc, v4, v39, vcc
	flat_load_dword v6, v[38:39]
	s_waitcnt vmcnt(0) lgkmcnt(0)
	v_mul_f32_e32 v6, v24, v6
	flat_store_dword v[38:39], v6
.LBB6_34:                               ;   in Loop: Header=BB6_6 Depth=1
	s_or_b64 exec, exec, s[12:13]
	s_waitcnt lgkmcnt(0)
	v_add_u32_e32 v50, v48, v0
	v_cmp_lt_i32_e32 vcc, v50, v49
	s_and_saveexec_b64 s[12:13], vcc
	s_cbranch_execz .LBB6_37
; %bb.35:                               ;   in Loop: Header=BB6_6 Depth=1
	v_ashrrev_i32_e32 v51, 31, v50
	v_lshlrev_b64 v[54:55], 2, v[50:51]
	s_mov_b64 s[14:15], 0
.LBB6_36:                               ;   Parent Loop BB6_6 Depth=1
                                        ; =>  This Inner Loop Header: Depth=2
	v_add_co_u32_e32 v38, vcc, v9, v54
	v_addc_co_u32_e32 v39, vcc, v4, v55, vcc
	flat_load_dword v6, v[38:39]
	v_add_co_u32_e32 v52, vcc, v5, v54
	v_addc_co_u32_e32 v53, vcc, v62, v55, vcc
	v_add_co_u32_e32 v54, vcc, v54, v26
	v_add_u32_e32 v50, v50, v22
	v_addc_co_u32_e32 v55, vcc, v55, v27, vcc
	v_cmp_ge_i32_e32 vcc, v50, v49
	s_or_b64 s[14:15], vcc, s[14:15]
	s_waitcnt vmcnt(0) lgkmcnt(0)
	v_mul_f32_e32 v6, v24, v6
	flat_store_dword v[38:39], v6
	flat_load_dword v6, v[52:53]
	s_waitcnt vmcnt(0) lgkmcnt(0)
	v_mul_f32_e32 v6, v24, v6
	flat_store_dword v[52:53], v6
	s_andn2_b64 exec, exec, s[14:15]
	s_cbranch_execnz .LBB6_36
.LBB6_37:                               ;   in Loop: Header=BB6_6 Depth=1
	s_or_b64 exec, exec, s[12:13]
.LBB6_38:                               ;   in Loop: Header=BB6_6 Depth=1
	s_or_b64 exec, exec, s[10:11]
	s_waitcnt lgkmcnt(0)
	s_barrier
	ds_read2_b32 v[54:55], v25 offset1:5
	ds_read_b32 v41, v25 offset:28
	v_accvgpr_write_b32 a35, v19
	v_accvgpr_write_b32 a34, v18
	s_waitcnt lgkmcnt(0)
	v_cmp_lt_i32_e32 vcc, v55, v54
	v_mov_b32_e32 v40, v55
	v_cmp_lt_i32_e64 s[10:11], v41, v32
	s_cbranch_vccnz .LBB6_123
; %bb.39:                               ;   in Loop: Header=BB6_6 Depth=1
	v_accvgpr_mov_b32 a0, a4
	v_accvgpr_read_b32 v43, a9
	v_accvgpr_mov_b32 a1, a5
	v_accvgpr_read_b32 v42, a8
	v_accvgpr_read_b32 v55, a6
	s_and_saveexec_b64 s[24:25], s[10:11]
	s_cbranch_execz .LBB6_127
; %bb.40:                               ;   in Loop: Header=BB6_6 Depth=1
	v_accvgpr_write_b32 a16, v56
	v_accvgpr_read_b32 v43, a9
	v_accvgpr_mov_b32 a0, a4
	v_accvgpr_write_b32 a23, v61
	v_accvgpr_write_b32 a22, v60
	;; [unrolled: 1-line block ×5, first 2 shown]
	s_mov_b64 s[26:27], 0
	v_accvgpr_read_b32 v55, a6
	v_accvgpr_read_b32 v42, a8
	v_accvgpr_mov_b32 a1, a5
	v_mov_b32_e32 v61, v41
	v_mov_b32_e32 v60, v40
	;; [unrolled: 1-line block ×3, first 2 shown]
	s_branch .LBB6_43
.LBB6_41:                               ;   in Loop: Header=BB6_43 Depth=2
	s_or_b64 exec, exec, s[28:29]
	s_waitcnt lgkmcnt(0)
	s_barrier
	ds_read_b32 v49, v25
.LBB6_42:                               ;   in Loop: Header=BB6_43 Depth=2
	ds_read2_b32 v[60:61], v25 offset0:5 offset1:7
	s_waitcnt lgkmcnt(0)
	v_mov_b32_e32 v44, v49
	v_cmp_gt_i32_e32 vcc, v49, v60
	v_cmp_ge_i32_e64 s[12:13], v61, v32
	s_or_b64 s[12:13], vcc, s[12:13]
	s_and_b64 s[12:13], exec, s[12:13]
	s_or_b64 s[26:27], s[12:13], s[26:27]
	s_andn2_b64 exec, exec, s[26:27]
	s_cbranch_execz .LBB6_126
.LBB6_43:                               ;   Parent Loop BB6_6 Depth=1
                                        ; =>  This Loop Header: Depth=2
                                        ;       Child Loop BB6_49 Depth 3
                                        ;       Child Loop BB6_69 Depth 3
	;; [unrolled: 1-line block ×3, first 2 shown]
                                        ;         Child Loop BB6_117 Depth 4
	s_and_saveexec_b64 s[28:29], s[4:5]
	s_cbranch_execz .LBB6_112
; %bb.44:                               ;   in Loop: Header=BB6_43 Depth=2
	v_cmp_lt_i32_e32 vcc, v44, v60
	s_mov_b64 s[14:15], 0
	s_cbranch_vccnz .LBB6_46
; %bb.45:                               ;   in Loop: Header=BB6_43 Depth=2
	v_ashrrev_i32_e32 v45, 31, v44
	s_mov_b64 s[12:13], -1
	v_pk_mov_b32 v[48:49], v[44:45], v[44:45] op_sel:[0,1]
	v_mov_b32_e32 v56, v44
	s_cbranch_execz .LBB6_47
	s_branch .LBB6_52
.LBB6_46:                               ;   in Loop: Header=BB6_43 Depth=2
                                        ; implicit-def: $vgpr48_vgpr49
	s_mov_b64 s[12:13], 0
	v_mov_b32_e32 v56, v44
.LBB6_47:                               ;   in Loop: Header=BB6_43 Depth=2
	v_ashrrev_i32_e32 v45, 31, v44
	v_lshlrev_b64 v[38:39], 2, v[44:45]
	v_add_co_u32_e32 v48, vcc, v9, v38
	v_addc_co_u32_e32 v49, vcc, v4, v39, vcc
	v_add_co_u32_e32 v50, vcc, v5, v38
	v_addc_co_u32_e32 v51, vcc, v62, v39, vcc
	v_mov_b32_e32 v24, v44
                                        ; implicit-def: $sgpr12_sgpr13
                                        ; implicit-def: $sgpr34_sgpr35
                                        ; implicit-def: $sgpr30_sgpr31
	s_branch .LBB6_49
.LBB6_48:                               ;   in Loop: Header=BB6_49 Depth=3
	s_or_b64 exec, exec, s[36:37]
	s_xor_b64 vcc, s[30:31], -1
	s_and_b64 s[36:37], exec, s[34:35]
	s_or_b64 s[14:15], s[36:37], s[14:15]
	s_andn2_b64 s[12:13], s[12:13], exec
	s_and_b64 vcc, vcc, exec
	s_or_b64 s[12:13], s[12:13], vcc
	s_andn2_b64 exec, exec, s[14:15]
	s_cbranch_execz .LBB6_51
.LBB6_49:                               ;   Parent Loop BB6_6 Depth=1
                                        ;     Parent Loop BB6_43 Depth=2
                                        ; =>    This Inner Loop Header: Depth=3
	flat_load_dwordx2 v[38:39], v[48:49]
	flat_load_dword v6, v[50:51]
	v_pk_mov_b32 v[42:43], v[50:51], v[50:51] op_sel:[0,1]
	v_mov_b32_e32 v55, v24
	s_or_b64 s[30:31], s[30:31], exec
	s_or_b64 s[34:35], s[34:35], exec
                                        ; implicit-def: $vgpr24
                                        ; implicit-def: $vgpr50_vgpr51
	s_waitcnt vmcnt(0) lgkmcnt(0)
	v_mul_f32_e32 v7, v38, v39
	v_mul_f32_e32 v6, v6, v6
	v_mul_f32_e64 v7, v11, |v7|
	v_cmp_nle_f32_e64 vcc, |v6|, v7
	s_and_saveexec_b64 s[36:37], vcc
	s_cbranch_execz .LBB6_48
; %bb.50:                               ;   in Loop: Header=BB6_49 Depth=3
	v_add_co_u32_e32 v48, vcc, 4, v48
	v_addc_co_u32_e32 v49, vcc, 0, v49, vcc
	v_add_co_u32_e32 v50, vcc, 4, v42
	v_add_u32_e32 v24, 1, v55
	v_addc_co_u32_e32 v51, vcc, 0, v43, vcc
	v_cmp_ge_i32_e32 vcc, v24, v60
	s_andn2_b64 s[34:35], s[34:35], exec
	s_and_b64 vcc, vcc, exec
	s_andn2_b64 s[30:31], s[30:31], exec
	s_or_b64 s[34:35], s[34:35], vcc
	s_branch .LBB6_48
.LBB6_51:                               ;   in Loop: Header=BB6_43 Depth=2
	s_or_b64 exec, exec, s[14:15]
	v_accvgpr_write_b32 a0, v44
	s_mov_b64 s[14:15], -1
	v_accvgpr_write_b32 a1, v45
	v_mov_b32_e32 v56, v60
	v_pk_mov_b32 v[48:49], v[44:45], v[44:45] op_sel:[0,1]
.LBB6_52:                               ;   in Loop: Header=BB6_43 Depth=2
	s_and_saveexec_b64 vcc, s[12:13]
	s_cbranch_execnz .LBB6_81
; %bb.53:                               ;   in Loop: Header=BB6_43 Depth=2
	s_or_b64 exec, exec, vcc
	s_and_saveexec_b64 s[12:13], s[14:15]
	s_cbranch_execz .LBB6_55
.LBB6_54:                               ;   in Loop: Header=BB6_43 Depth=2
	v_accvgpr_read_b32 v49, a1
	v_accvgpr_read_b32 v48, a0
	v_mov_b32_e32 v56, v55
	ds_write2_b32 v25, v55, v44 offset0:1 offset1:4
	flat_store_dword v[42:43], v25
.LBB6_55:                               ;   in Loop: Header=BB6_43 Depth=2
	s_or_b64 exec, exec, s[12:13]
	v_lshlrev_b64 v[58:59], 2, v[48:49]
	v_add_co_u32_e32 v46, vcc, v9, v58
	v_addc_co_u32_e32 v47, vcc, v4, v59, vcc
	flat_load_dword v45, v[46:47]
	v_cmp_ne_u32_e32 vcc, v56, v44
	s_waitcnt vmcnt(0) lgkmcnt(0)
	ds_write_b32 v25, v45 offset:8
	s_and_saveexec_b64 s[12:13], vcc
	s_xor_b64 s[30:31], exec, s[12:13]
	s_cbranch_execz .LBB6_109
; %bb.56:                               ;   in Loop: Header=BB6_43 Depth=2
	v_add_u32_e32 v6, 1, v44
	v_cmp_ne_u32_e32 vcc, v56, v6
	s_and_saveexec_b64 s[12:13], vcc
	s_xor_b64 s[34:35], exec, s[12:13]
	s_cbranch_execz .LBB6_85
; %bb.57:                               ;   in Loop: Header=BB6_43 Depth=2
	v_add_co_u32_e32 v58, vcc, v5, v58
	v_addc_co_u32_e32 v59, vcc, v62, v59, vcc
	flat_load_dword v6, v[46:47] offset:4
	flat_load_dword v7, v[58:59]
	v_ashrrev_i32_e32 v57, 31, v56
	v_lshlrev_b64 v[50:51], 2, v[56:57]
	v_add_co_u32_e32 v48, vcc, v9, v50
	v_addc_co_u32_e32 v49, vcc, v4, v51, vcc
	flat_load_dword v12, v[48:49]
	v_mov_b32_e32 v38, 0
	s_waitcnt vmcnt(0) lgkmcnt(0)
	v_sub_f32_e32 v6, v6, v45
	v_add_f32_e32 v13, v7, v7
	v_div_scale_f32 v14, s[12:13], v13, v13, v6
	v_rcp_f32_e32 v15, v14
	v_div_scale_f32 v18, vcc, v6, v13, v6
	v_cmp_gt_i32_e64 s[12:13], v56, v44
	v_fma_f32 v19, -v14, v15, 1.0
	v_fmac_f32_e32 v15, v19, v15
	v_mul_f32_e32 v19, v18, v15
	v_fma_f32 v24, -v14, v19, v18
	v_fmac_f32_e32 v19, v24, v15
	v_fma_f32 v14, -v14, v19, v18
	v_div_fmas_f32 v14, v14, v15, v19
	v_div_fixup_f32 v6, v14, v13, v6
	v_fma_f32 v13, v6, v6, 1.0
	v_mul_f32_e32 v14, 0x4f800000, v13
	v_cmp_gt_f32_e32 vcc, s46, v13
	v_cndmask_b32_e32 v13, v13, v14, vcc
	v_sqrt_f32_e32 v14, v13
	v_add_u32_e32 v15, 1, v61
	ds_write2_b32 v25, v25, v15 offset0:2 offset1:7
	v_sub_f32_e32 v12, v12, v45
	v_add_u32_e32 v15, -1, v14
	v_add_u32_e32 v18, 1, v14
	v_fma_f32 v19, -v15, v14, v13
	v_fma_f32 v24, -v18, v14, v13
	v_cmp_ge_f32_e64 s[14:15], 0, v19
	v_cndmask_b32_e64 v14, v14, v15, s[14:15]
	v_cmp_lt_f32_e64 s[14:15], 0, v24
	v_cndmask_b32_e64 v14, v14, v18, s[14:15]
	v_mul_f32_e32 v15, 0x37800000, v14
	v_cndmask_b32_e32 v14, v14, v15, vcc
	v_cmp_class_f32_e32 vcc, v13, v8
	v_cndmask_b32_e32 v13, v14, v13, vcc
	v_cmp_nle_f32_e32 vcc, 0, v6
	v_cndmask_b32_e64 v13, |v13|, -|v13|, vcc
	v_add_f32_e32 v6, v6, v13
	v_div_scale_f32 v13, s[14:15], v6, v6, v7
	v_rcp_f32_e32 v14, v13
	v_div_scale_f32 v15, vcc, v7, v6, v7
	v_fma_f32 v18, -v13, v14, 1.0
	v_fmac_f32_e32 v14, v18, v14
	v_mul_f32_e32 v18, v15, v14
	v_fma_f32 v19, -v13, v18, v15
	v_fmac_f32_e32 v18, v19, v14
	v_fma_f32 v13, -v13, v18, v15
	v_div_fmas_f32 v13, v13, v14, v18
	v_div_fixup_f32 v6, v13, v6, v7
	v_add_f32_e32 v24, v12, v6
	s_and_saveexec_b64 s[14:15], s[12:13]
	s_cbranch_execz .LBB6_84
; %bb.58:                               ;   in Loop: Header=BB6_43 Depth=2
	v_accvgpr_read_b32 v19, a23
	v_add_co_u32_e32 v6, vcc, v19, v50
	v_accvgpr_read_b32 v7, a24
	v_addc_co_u32_e32 v7, vcc, v7, v51, vcc
	flat_load_dword v57, v[6:7]
	v_mov_b32_e32 v45, 1.0
	v_mov_b32_e32 v38, 0
	s_waitcnt vmcnt(0) lgkmcnt(0)
	v_cmp_neq_f32_e32 vcc, 0, v57
	s_and_saveexec_b64 s[36:37], vcc
	s_cbranch_execz .LBB6_66
; %bb.59:                               ;   in Loop: Header=BB6_43 Depth=2
	v_cmp_neq_f32_e32 vcc, 0, v24
	v_mov_b32_e32 v38, 1.0
	v_mov_b32_e32 v45, 0
	s_and_saveexec_b64 s[38:39], vcc
	s_cbranch_execz .LBB6_65
; %bb.60:                               ;   in Loop: Header=BB6_43 Depth=2
	v_cmp_ngt_f32_e64 s[12:13], |v57|, |v24|
                                        ; implicit-def: $vgpr38
                                        ; implicit-def: $vgpr45
	s_and_saveexec_b64 vcc, s[12:13]
	s_xor_b64 s[40:41], exec, vcc
	s_cbranch_execz .LBB6_62
; %bb.61:                               ;   in Loop: Header=BB6_43 Depth=2
	v_div_scale_f32 v6, s[12:13], v24, v24, -v57
	v_rcp_f32_e32 v7, v6
	v_div_scale_f32 v12, vcc, -v57, v24, -v57
	v_fma_f32 v13, -v6, v7, 1.0
	v_fmac_f32_e32 v7, v13, v7
	v_mul_f32_e32 v13, v12, v7
	v_fma_f32 v14, -v6, v13, v12
	v_fmac_f32_e32 v13, v14, v7
	v_fma_f32 v6, -v6, v13, v12
	v_div_fmas_f32 v6, v6, v7, v13
	v_div_fixup_f32 v6, v6, v24, -v57
	v_fma_f32 v7, v6, v6, 1.0
	v_mul_f32_e32 v12, 0x4f800000, v7
	v_cmp_gt_f32_e32 vcc, s46, v7
	v_cndmask_b32_e32 v7, v7, v12, vcc
	v_sqrt_f32_e32 v12, v7
                                        ; implicit-def: $vgpr24
	v_add_u32_e32 v13, -1, v12
	v_fma_f32 v14, -v13, v12, v7
	v_cmp_ge_f32_e64 s[12:13], 0, v14
	v_add_u32_e32 v14, 1, v12
	v_cndmask_b32_e64 v13, v12, v13, s[12:13]
	v_fma_f32 v12, -v14, v12, v7
	v_cmp_lt_f32_e64 s[12:13], 0, v12
	v_cndmask_b32_e64 v12, v13, v14, s[12:13]
	v_mul_f32_e32 v13, 0x37800000, v12
	v_cndmask_b32_e32 v12, v12, v13, vcc
	v_cmp_class_f32_e32 vcc, v7, v8
	v_cndmask_b32_e32 v7, v12, v7, vcc
	v_div_scale_f32 v12, s[12:13], v7, v7, 1.0
	v_rcp_f32_e32 v13, v12
	v_fma_f32 v14, -v12, v13, 1.0
	v_fmac_f32_e32 v13, v14, v13
	v_div_scale_f32 v14, vcc, 1.0, v7, 1.0
	v_mul_f32_e32 v15, v14, v13
	v_fma_f32 v18, -v12, v15, v14
	v_fmac_f32_e32 v15, v18, v13
	v_fma_f32 v12, -v12, v15, v14
	v_div_fmas_f32 v12, v12, v13, v15
	v_div_fixup_f32 v45, v12, v7, 1.0
	v_mul_f32_e32 v38, v6, v45
.LBB6_62:                               ;   in Loop: Header=BB6_43 Depth=2
	s_andn2_saveexec_b64 s[40:41], s[40:41]
	s_cbranch_execz .LBB6_64
; %bb.63:                               ;   in Loop: Header=BB6_43 Depth=2
	v_div_scale_f32 v6, s[12:13], v57, v57, -v24
	v_rcp_f32_e32 v7, v6
	v_div_scale_f32 v12, vcc, -v24, v57, -v24
	v_fma_f32 v13, -v6, v7, 1.0
	v_fmac_f32_e32 v7, v13, v7
	v_mul_f32_e32 v13, v12, v7
	v_fma_f32 v14, -v6, v13, v12
	v_fmac_f32_e32 v13, v14, v7
	v_fma_f32 v6, -v6, v13, v12
	v_div_fmas_f32 v6, v6, v7, v13
	v_div_fixup_f32 v6, v6, v57, -v24
	v_fma_f32 v7, v6, v6, 1.0
	v_mul_f32_e32 v12, 0x4f800000, v7
	v_cmp_gt_f32_e32 vcc, s46, v7
	v_cndmask_b32_e32 v7, v7, v12, vcc
	v_sqrt_f32_e32 v12, v7
	v_add_u32_e32 v13, -1, v12
	v_fma_f32 v14, -v13, v12, v7
	v_cmp_ge_f32_e64 s[12:13], 0, v14
	v_add_u32_e32 v14, 1, v12
	v_cndmask_b32_e64 v13, v12, v13, s[12:13]
	v_fma_f32 v12, -v14, v12, v7
	v_cmp_lt_f32_e64 s[12:13], 0, v12
	v_cndmask_b32_e64 v12, v13, v14, s[12:13]
	v_mul_f32_e32 v13, 0x37800000, v12
	v_cndmask_b32_e32 v12, v12, v13, vcc
	v_cmp_class_f32_e32 vcc, v7, v8
	v_cndmask_b32_e32 v7, v12, v7, vcc
	v_div_scale_f32 v12, s[12:13], v7, v7, 1.0
	v_rcp_f32_e32 v13, v12
	v_fma_f32 v14, -v12, v13, 1.0
	v_fmac_f32_e32 v13, v14, v13
	v_div_scale_f32 v14, vcc, 1.0, v7, 1.0
	v_mul_f32_e32 v15, v14, v13
	v_fma_f32 v18, -v12, v15, v14
	v_fmac_f32_e32 v15, v18, v13
	v_fma_f32 v12, -v12, v15, v14
	v_div_fmas_f32 v12, v12, v13, v15
	v_div_fixup_f32 v38, v12, v7, 1.0
	v_mul_f32_e32 v45, v6, v38
.LBB6_64:                               ;   in Loop: Header=BB6_43 Depth=2
	s_or_b64 exec, exec, s[40:41]
.LBB6_65:                               ;   in Loop: Header=BB6_43 Depth=2
	s_or_b64 exec, exec, s[38:39]
.LBB6_66:                               ;   in Loop: Header=BB6_43 Depth=2
	s_or_b64 exec, exec, s[36:37]
	v_add_co_u32_e32 v6, vcc, -4, v48
	v_addc_co_u32_e32 v7, vcc, -1, v49, vcc
	flat_load_dwordx2 v[6:7], v[6:7]
	v_accvgpr_read_b32 v12, a25
	v_add_co_u32_e32 v12, vcc, v12, v50
	v_accvgpr_read_b32 v13, a26
	v_addc_co_u32_e32 v13, vcc, v13, v51, vcc
	v_accvgpr_read_b32 v14, a28
	v_add_f32_e32 v18, v45, v45
	v_accvgpr_read_b32 v15, a29
	v_add_co_u32_e32 v14, vcc, v12, v14
	v_add_u32_e32 v60, -1, v56
	v_addc_co_u32_e32 v15, vcc, v13, v15, vcc
	v_cmp_gt_i32_e32 vcc, v60, v44
	s_waitcnt vmcnt(0) lgkmcnt(0)
	v_sub_f32_e32 v6, v6, v7
	v_mul_f32_e32 v6, v38, v6
	v_fma_f32 v6, v57, v18, -v6
	v_mul_f32_e64 v18, v6, -v38
	v_fma_f32 v7, v6, -v38, v7
	v_fma_f32 v24, v45, v6, -v57
	ds_write_b32 v25, v18 offset:8
	flat_store_dword v[48:49], v7
	flat_store_dword v[12:13], v45
	;; [unrolled: 1-line block ×3, first 2 shown]
	s_and_saveexec_b64 s[36:37], vcc
	s_cbranch_execz .LBB6_83
; %bb.67:                               ;   in Loop: Header=BB6_43 Depth=2
	v_ashrrev_i32_e32 v61, 31, v60
	v_lshlrev_b64 v[6:7], 2, v[60:61]
	v_accvgpr_read_b32 v12, a25
	v_add_co_u32_e32 v60, vcc, v12, v6
	v_accvgpr_read_b32 v12, a26
	v_addc_co_u32_e32 v61, vcc, v12, v7, vcc
	v_accvgpr_read_b32 v12, a27
	v_add_co_u32_e32 v48, vcc, v12, v6
	v_accvgpr_read_b32 v12, a30
	v_addc_co_u32_e32 v49, vcc, v12, v7, vcc
	v_add_co_u32_e32 v50, vcc, v19, v6
	v_accvgpr_read_b32 v6, a24
	v_xor_b32_e32 v39, 0x80000000, v38
	v_addc_co_u32_e32 v51, vcc, v6, v7, vcc
	s_mov_b32 s48, -1
	s_mov_b64 s[38:39], 0
	s_branch .LBB6_69
.LBB6_68:                               ;   in Loop: Header=BB6_69 Depth=3
	flat_load_dwordx2 v[6:7], v[48:49]
	ds_read_b32 v15, v25 offset:8
	v_accvgpr_read_b32 v12, a28
	v_accvgpr_read_b32 v13, a29
	v_add_co_u32_e32 v12, vcc, v60, v12
	v_addc_co_u32_e32 v13, vcc, v61, v13, vcc
	v_mul_f32_e32 v14, v45, v57
	v_add_f32_e32 v18, v53, v53
	s_add_i32 s48, s48, -1
	v_add_co_u32_e32 v50, vcc, -4, v50
	v_addc_co_u32_e32 v51, vcc, -1, v51, vcc
	v_add_u32_e32 v19, s48, v56
	v_cmp_le_i32_e32 vcc, v19, v44
	s_or_b64 s[38:39], vcc, s[38:39]
	v_xor_b32_e32 v39, 0x80000000, v38
	v_mov_b32_e32 v45, v53
	s_waitcnt vmcnt(0) lgkmcnt(0)
	v_sub_f32_e32 v7, v7, v15
	v_sub_f32_e32 v6, v6, v7
	v_mul_f32_e32 v6, v38, v6
	v_fma_f32 v6, v14, v18, -v6
	v_mul_f32_e64 v15, v6, -v38
	v_fma_f32 v7, v6, -v38, v7
	ds_write_b32 v25, v15 offset:8
	flat_store_dword v[48:49], v7 offset:4
	flat_store_dword v[60:61], v53
	flat_store_dword v[12:13], v38
	v_add_co_u32_e32 v60, vcc, -4, v60
	v_addc_co_u32_e32 v61, vcc, -1, v61, vcc
	v_add_co_u32_e32 v48, vcc, -4, v48
	v_fma_f32 v24, v53, v6, -v14
	v_addc_co_u32_e32 v49, vcc, -1, v49, vcc
	s_andn2_b64 exec, exec, s[38:39]
	s_cbranch_execz .LBB6_82
.LBB6_69:                               ;   Parent Loop BB6_6 Depth=1
                                        ;     Parent Loop BB6_43 Depth=2
                                        ; =>    This Inner Loop Header: Depth=3
	flat_load_dword v57, v[50:51]
	v_mov_b32_e32 v53, 1.0
	v_mov_b32_e32 v38, 0
	s_waitcnt vmcnt(0) lgkmcnt(0)
	v_mul_f32_e32 v52, v39, v57
	v_cmp_neq_f32_e32 vcc, 0, v52
	s_and_saveexec_b64 s[40:41], vcc
	s_cbranch_execz .LBB6_79
; %bb.70:                               ;   in Loop: Header=BB6_69 Depth=3
	v_cmp_neq_f32_e32 vcc, 0, v24
                                        ; implicit-def: $vgpr38
                                        ; implicit-def: $vgpr53
	s_and_saveexec_b64 s[12:13], vcc
	s_xor_b64 s[42:43], exec, s[12:13]
	s_cbranch_execz .LBB6_76
; %bb.71:                               ;   in Loop: Header=BB6_69 Depth=3
	v_cmp_ngt_f32_e64 s[12:13], |v52|, |v24|
                                        ; implicit-def: $vgpr38
                                        ; implicit-def: $vgpr53
	s_and_saveexec_b64 vcc, s[12:13]
	s_xor_b64 s[44:45], exec, vcc
	s_cbranch_execz .LBB6_73
; %bb.72:                               ;   in Loop: Header=BB6_69 Depth=3
	v_div_scale_f32 v6, s[12:13], v24, v24, -v52
	v_rcp_f32_e32 v7, v6
	v_div_scale_f32 v12, vcc, -v52, v24, -v52
	v_fma_f32 v13, -v6, v7, 1.0
	v_fmac_f32_e32 v7, v13, v7
	v_mul_f32_e32 v13, v12, v7
	v_fma_f32 v14, -v6, v13, v12
	v_fmac_f32_e32 v13, v14, v7
	v_fma_f32 v6, -v6, v13, v12
	v_div_fmas_f32 v6, v6, v7, v13
	v_div_fixup_f32 v6, v6, v24, -v52
	v_fma_f32 v7, v6, v6, 1.0
	v_mul_f32_e32 v12, 0x4f800000, v7
	v_cmp_gt_f32_e32 vcc, s46, v7
	v_cndmask_b32_e32 v7, v7, v12, vcc
	v_sqrt_f32_e32 v12, v7
	v_add_u32_e32 v13, -1, v12
	v_fma_f32 v14, -v13, v12, v7
	v_cmp_ge_f32_e64 s[12:13], 0, v14
	v_add_u32_e32 v14, 1, v12
	v_cndmask_b32_e64 v13, v12, v13, s[12:13]
	v_fma_f32 v12, -v14, v12, v7
	v_cmp_lt_f32_e64 s[12:13], 0, v12
	v_cndmask_b32_e64 v12, v13, v14, s[12:13]
	v_mul_f32_e32 v13, 0x37800000, v12
	v_cndmask_b32_e32 v12, v12, v13, vcc
	v_cmp_class_f32_e32 vcc, v7, v8
	v_cndmask_b32_e32 v7, v12, v7, vcc
	v_div_scale_f32 v12, s[12:13], v7, v7, 1.0
	v_rcp_f32_e32 v13, v12
	v_fma_f32 v14, -v12, v13, 1.0
	v_fmac_f32_e32 v13, v14, v13
	v_div_scale_f32 v14, vcc, 1.0, v7, 1.0
	v_mul_f32_e32 v15, v14, v13
	v_fma_f32 v18, -v12, v15, v14
	v_fmac_f32_e32 v15, v18, v13
	v_fma_f32 v12, -v12, v15, v14
	v_div_fmas_f32 v12, v12, v13, v15
	v_div_fixup_f32 v53, v12, v7, 1.0
	v_mul_f32_e32 v38, v6, v53
.LBB6_73:                               ;   in Loop: Header=BB6_69 Depth=3
	s_andn2_saveexec_b64 s[44:45], s[44:45]
	s_cbranch_execz .LBB6_75
; %bb.74:                               ;   in Loop: Header=BB6_69 Depth=3
	v_div_scale_f32 v6, s[12:13], v52, v52, -v24
	v_rcp_f32_e32 v7, v6
	v_div_scale_f32 v12, vcc, -v24, v52, -v24
	v_fma_f32 v13, -v6, v7, 1.0
	v_fmac_f32_e32 v7, v13, v7
	v_mul_f32_e32 v13, v12, v7
	v_fma_f32 v14, -v6, v13, v12
	v_fmac_f32_e32 v13, v14, v7
	v_fma_f32 v6, -v6, v13, v12
	v_div_fmas_f32 v6, v6, v7, v13
	v_div_fixup_f32 v6, v6, v52, -v24
	v_fma_f32 v7, v6, v6, 1.0
	v_mul_f32_e32 v12, 0x4f800000, v7
	v_cmp_gt_f32_e32 vcc, s46, v7
	v_cndmask_b32_e32 v7, v7, v12, vcc
	v_sqrt_f32_e32 v12, v7
	v_add_u32_e32 v13, -1, v12
	v_fma_f32 v14, -v13, v12, v7
	v_cmp_ge_f32_e64 s[12:13], 0, v14
	v_add_u32_e32 v14, 1, v12
	v_cndmask_b32_e64 v13, v12, v13, s[12:13]
	v_fma_f32 v12, -v14, v12, v7
	v_cmp_lt_f32_e64 s[12:13], 0, v12
	v_cndmask_b32_e64 v12, v13, v14, s[12:13]
	v_mul_f32_e32 v13, 0x37800000, v12
	v_cndmask_b32_e32 v12, v12, v13, vcc
	v_cmp_class_f32_e32 vcc, v7, v8
	v_cndmask_b32_e32 v7, v12, v7, vcc
	v_div_scale_f32 v12, s[12:13], v7, v7, 1.0
	v_rcp_f32_e32 v13, v12
	v_fma_f32 v14, -v12, v13, 1.0
	v_fmac_f32_e32 v13, v14, v13
	v_div_scale_f32 v14, vcc, 1.0, v7, 1.0
	v_mul_f32_e32 v15, v14, v13
	v_fma_f32 v18, -v12, v15, v14
	v_fmac_f32_e32 v15, v18, v13
	v_fma_f32 v12, -v12, v15, v14
	v_div_fmas_f32 v12, v12, v13, v15
	v_div_fixup_f32 v38, v12, v7, 1.0
	v_mul_f32_e32 v53, v6, v38
.LBB6_75:                               ;   in Loop: Header=BB6_69 Depth=3
	s_or_b64 exec, exec, s[44:45]
	v_mul_f32_e32 v6, v52, v38
	v_fma_f32 v24, v24, v53, -v6
                                        ; implicit-def: $vgpr52
.LBB6_76:                               ;   in Loop: Header=BB6_69 Depth=3
	s_andn2_saveexec_b64 s[12:13], s[42:43]
; %bb.77:                               ;   in Loop: Header=BB6_69 Depth=3
	v_xor_b32_e32 v24, 0x80000000, v52
	v_mov_b32_e32 v38, 1.0
	v_mov_b32_e32 v53, 0
; %bb.78:                               ;   in Loop: Header=BB6_69 Depth=3
	s_or_b64 exec, exec, s[12:13]
.LBB6_79:                               ;   in Loop: Header=BB6_69 Depth=3
	s_or_b64 exec, exec, s[40:41]
	s_cmp_eq_u32 s48, 0
	s_cbranch_scc1 .LBB6_68
; %bb.80:                               ;   in Loop: Header=BB6_69 Depth=3
	flat_store_dword v[50:51], v24 offset:4
	s_branch .LBB6_68
.LBB6_81:                               ;   in Loop: Header=BB6_43 Depth=2
	s_andn2_b64 s[14:15], s[14:15], exec
	ds_write2_b32 v25, v56, v44 offset0:1 offset1:4
	s_or_b64 exec, exec, vcc
	s_and_saveexec_b64 s[12:13], s[14:15]
	s_cbranch_execnz .LBB6_54
	s_branch .LBB6_55
.LBB6_82:                               ;   in Loop: Header=BB6_43 Depth=2
	s_or_b64 exec, exec, s[38:39]
.LBB6_83:                               ;   in Loop: Header=BB6_43 Depth=2
	s_or_b64 exec, exec, s[36:37]
	ds_read_b32 v38, v25 offset:8
.LBB6_84:                               ;   in Loop: Header=BB6_43 Depth=2
	s_or_b64 exec, exec, s[14:15]
	flat_load_dword v6, v[46:47]
                                        ; implicit-def: $vgpr44
                                        ; implicit-def: $vgpr45
	s_waitcnt vmcnt(0) lgkmcnt(0)
	v_sub_f32_e32 v6, v6, v38
	flat_store_dword v[46:47], v6
	flat_store_dword v[58:59], v24
                                        ; implicit-def: $vgpr58_vgpr59
                                        ; implicit-def: $vgpr46_vgpr47
.LBB6_85:                               ;   in Loop: Header=BB6_43 Depth=2
	s_andn2_saveexec_b64 s[34:35], s[34:35]
	s_cbranch_execz .LBB6_118
; %bb.86:                               ;   in Loop: Header=BB6_43 Depth=2
	v_add_co_u32_e32 v6, vcc, v5, v58
	v_addc_co_u32_e32 v7, vcc, v62, v59, vcc
	flat_load_dword v38, v[46:47] offset:4
	flat_load_dword v50, v[6:7]
                                        ; implicit-def: $vgpr24
	s_waitcnt vmcnt(0) lgkmcnt(0)
	v_sub_f32_e32 v49, v45, v38
	v_add_f32_e32 v48, v50, v50
	v_and_b32_e32 v39, 0x7fffffff, v48
	v_cmp_ngt_f32_e64 s[12:13], |v49|, |v48|
	s_and_saveexec_b64 s[14:15], s[12:13]
	s_xor_b64 s[14:15], exec, s[14:15]
	s_cbranch_execz .LBB6_92
; %bb.87:                               ;   in Loop: Header=BB6_43 Depth=2
	v_cmp_nlt_f32_e64 s[12:13], |v49|, |v48|
                                        ; implicit-def: $vgpr24
	s_and_saveexec_b64 vcc, s[12:13]
	s_xor_b64 s[12:13], exec, vcc
; %bb.88:                               ;   in Loop: Header=BB6_43 Depth=2
	v_cvt_f64_f32_e32 v[52:53], v39
	v_mul_f64 v[52:53], v[52:53], s[20:21]
	v_cvt_f32_f64_e32 v24, v[52:53]
                                        ; implicit-def: $vgpr39
; %bb.89:                               ;   in Loop: Header=BB6_43 Depth=2
	s_andn2_saveexec_b64 s[36:37], s[12:13]
	s_cbranch_execz .LBB6_91
; %bb.90:                               ;   in Loop: Header=BB6_43 Depth=2
	v_and_b32_e32 v12, 0x7fffffff, v49
	v_div_scale_f32 v13, s[12:13], v39, v39, v12
	v_rcp_f32_e32 v14, v13
	v_div_scale_f32 v12, vcc, v12, v39, v12
	v_fma_f32 v15, -v13, v14, 1.0
	v_fmac_f32_e32 v14, v15, v14
	v_mul_f32_e32 v15, v12, v14
	v_fma_f32 v18, -v13, v15, v12
	v_fmac_f32_e32 v15, v18, v14
	v_fma_f32 v12, -v13, v15, v12
	v_div_fmas_f32 v12, v12, v14, v15
	v_div_fixup_f32 v12, v12, |v48|, |v49|
	v_fma_f32 v12, v12, v12, 1.0
	v_mul_f32_e32 v13, 0x4f800000, v12
	v_cmp_gt_f32_e32 vcc, s46, v12
	v_cndmask_b32_e32 v12, v12, v13, vcc
	v_sqrt_f32_e32 v13, v12
	v_add_u32_e32 v14, -1, v13
	v_fma_f32 v15, -v14, v13, v12
	v_cmp_ge_f32_e64 s[12:13], 0, v15
	v_add_u32_e32 v15, 1, v13
	v_cndmask_b32_e64 v14, v13, v14, s[12:13]
	v_fma_f32 v13, -v15, v13, v12
	v_cmp_lt_f32_e64 s[12:13], 0, v13
	v_cndmask_b32_e64 v13, v14, v15, s[12:13]
	v_mul_f32_e32 v14, 0x37800000, v13
	v_cndmask_b32_e32 v13, v13, v14, vcc
	v_cmp_class_f32_e32 vcc, v12, v8
	v_cndmask_b32_e32 v12, v13, v12, vcc
	v_mul_f32_e64 v24, |v48|, v12
.LBB6_91:                               ;   in Loop: Header=BB6_43 Depth=2
	s_or_b64 exec, exec, s[36:37]
                                        ; implicit-def: $vgpr39
.LBB6_92:                               ;   in Loop: Header=BB6_43 Depth=2
	s_andn2_saveexec_b64 s[14:15], s[14:15]
	s_cbranch_execz .LBB6_94
; %bb.93:                               ;   in Loop: Header=BB6_43 Depth=2
	v_and_b32_e32 v12, 0x7fffffff, v49
	v_div_scale_f32 v13, s[12:13], v12, v12, v39
	v_rcp_f32_e32 v14, v13
	v_div_scale_f32 v12, vcc, v39, v12, v39
	v_fma_f32 v15, -v13, v14, 1.0
	v_fmac_f32_e32 v14, v15, v14
	v_mul_f32_e32 v15, v12, v14
	v_fma_f32 v18, -v13, v15, v12
	v_fmac_f32_e32 v15, v18, v14
	v_fma_f32 v12, -v13, v15, v12
	v_div_fmas_f32 v12, v12, v14, v15
	v_div_fixup_f32 v12, v12, |v49|, |v48|
	v_fma_f32 v12, v12, v12, 1.0
	v_mul_f32_e32 v13, 0x4f800000, v12
	v_cmp_gt_f32_e32 vcc, s46, v12
	v_cndmask_b32_e32 v12, v12, v13, vcc
	v_sqrt_f32_e32 v13, v12
	v_add_u32_e32 v14, -1, v13
	v_fma_f32 v15, -v14, v13, v12
	v_cmp_ge_f32_e64 s[12:13], 0, v15
	v_add_u32_e32 v15, 1, v13
	v_cndmask_b32_e64 v14, v13, v14, s[12:13]
	v_fma_f32 v13, -v15, v13, v12
	v_cmp_lt_f32_e64 s[12:13], 0, v13
	v_cndmask_b32_e64 v13, v14, v15, s[12:13]
	v_mul_f32_e32 v14, 0x37800000, v13
	v_cndmask_b32_e32 v13, v13, v14, vcc
	v_cmp_class_f32_e32 vcc, v12, v8
	v_cndmask_b32_e32 v12, v13, v12, vcc
	v_mul_f32_e64 v24, |v49|, v12
.LBB6_94:                               ;   in Loop: Header=BB6_43 Depth=2
	s_or_b64 exec, exec, s[14:15]
	v_add_f32_e32 v52, v45, v38
	v_cmp_gt_f32_e64 vcc, |v45|, |v38|
	v_cndmask_b32_e32 v39, v45, v38, vcc
	v_cndmask_b32_e32 v38, v38, v45, vcc
	v_cmp_ngt_f32_e32 vcc, 0, v52
                                        ; implicit-def: $vgpr51
                                        ; implicit-def: $vgpr60_vgpr61
	s_and_saveexec_b64 s[12:13], vcc
	s_xor_b64 s[12:13], exec, s[12:13]
	s_cbranch_execz .LBB6_100
; %bb.95:                               ;   in Loop: Header=BB6_43 Depth=2
	v_cmp_nlt_f32_e32 vcc, 0, v52
                                        ; implicit-def: $sgpr36
                                        ; implicit-def: $vgpr60_vgpr61
	s_and_saveexec_b64 s[14:15], vcc
	s_xor_b64 s[14:15], exec, s[14:15]
; %bb.96:                               ;   in Loop: Header=BB6_43 Depth=2
	v_pk_mul_f32 v[60:61], v[24:25], s[22:23] op_sel_hi:[0,1]
	s_mov_b32 s36, 1
                                        ; implicit-def: $vgpr52
                                        ; implicit-def: $vgpr38
                                        ; implicit-def: $vgpr39
                                        ; implicit-def: $vgpr50
; %bb.97:                               ;   in Loop: Header=BB6_43 Depth=2
	s_or_saveexec_b64 s[14:15], s[14:15]
	v_mov_b32_e32 v51, s36
	s_xor_b64 exec, exec, s[14:15]
	s_cbranch_execz .LBB6_99
; %bb.98:                               ;   in Loop: Header=BB6_43 Depth=2
	v_add_f32_e32 v12, v52, v24
	v_mul_f32_e32 v60, 0.5, v12
	v_cvt_f64_f32_e32 v[12:13], v38
	v_cvt_f64_f32_e32 v[14:15], v60
	v_div_scale_f64 v[18:19], vcc, v[14:15], v[14:15], v[12:13]
	v_rcp_f64_e32 v[28:29], v[18:19]
	v_accvgpr_mov_b32 a18, a7
	v_fma_f64 v[32:33], -v[18:19], v[28:29], 1.0
	v_fmac_f64_e32 v[28:29], v[28:29], v[32:33]
	v_fma_f64 v[32:33], -v[18:19], v[28:29], 1.0
	v_fmac_f64_e32 v[28:29], v[28:29], v[32:33]
	v_div_scale_f64 v[32:33], vcc, v[12:13], v[14:15], v[12:13]
	v_mul_f64 v[52:53], v[32:33], v[28:29]
	v_fma_f64 v[18:19], -v[18:19], v[52:53], v[32:33]
	v_cvt_f64_f32_e32 v[32:33], v50
	v_div_scale_f64 v[50:51], s[36:37], v[14:15], v[14:15], v[32:33]
	v_rcp_f64_e32 v[56:57], v[50:51]
	v_div_fmas_f64 v[18:19], v[18:19], v[28:29], v[52:53]
	v_div_fixup_f64 v[12:13], v[18:19], v[14:15], v[12:13]
	v_cvt_f64_f32_e32 v[18:19], v39
	v_fma_f64 v[28:29], -v[50:51], v[56:57], 1.0
	v_fmac_f64_e32 v[56:57], v[56:57], v[28:29]
	v_fma_f64 v[28:29], -v[50:51], v[56:57], 1.0
	v_fmac_f64_e32 v[56:57], v[56:57], v[28:29]
	v_div_scale_f64 v[28:29], vcc, v[32:33], v[14:15], v[32:33]
	v_mul_f64 v[38:39], v[28:29], v[56:57]
	v_fma_f64 v[28:29], -v[50:51], v[38:39], v[28:29]
	v_mov_b32_e32 v51, 1
	s_nop 0
	v_div_fmas_f64 v[28:29], v[28:29], v[56:57], v[38:39]
	v_div_fixup_f64 v[14:15], v[28:29], v[14:15], v[32:33]
	v_mul_f64 v[14:15], v[14:15], v[32:33]
	v_fma_f64 v[12:13], v[12:13], v[18:19], -v[14:15]
	v_accvgpr_read_b32 v29, a12
	v_accvgpr_read_b32 v33, a21
	;; [unrolled: 1-line block ×3, first 2 shown]
	v_cvt_f32_f64_e32 v61, v[12:13]
.LBB6_99:                               ;   in Loop: Header=BB6_43 Depth=2
	s_or_b64 exec, exec, s[14:15]
                                        ; implicit-def: $vgpr52
                                        ; implicit-def: $vgpr38
                                        ; implicit-def: $vgpr39
                                        ; implicit-def: $vgpr50
.LBB6_100:                              ;   in Loop: Header=BB6_43 Depth=2
	s_andn2_saveexec_b64 s[12:13], s[12:13]
	s_cbranch_execz .LBB6_102
; %bb.101:                              ;   in Loop: Header=BB6_43 Depth=2
	v_sub_f32_e32 v12, v52, v24
	v_mul_f32_e32 v60, 0.5, v12
	v_cvt_f64_f32_e32 v[52:53], v38
	v_cvt_f64_f32_e32 v[18:19], v60
	v_div_scale_f64 v[28:29], s[14:15], v[18:19], v[18:19], v[52:53]
	v_rcp_f64_e32 v[12:13], v[28:29]
	v_accvgpr_mov_b32 a18, a7
	v_fma_f64 v[32:33], -v[28:29], v[12:13], 1.0
	v_fmac_f64_e32 v[12:13], v[12:13], v[32:33]
	v_fma_f64 v[32:33], -v[28:29], v[12:13], 1.0
	v_fmac_f64_e32 v[12:13], v[12:13], v[32:33]
	v_div_scale_f64 v[32:33], vcc, v[52:53], v[18:19], v[52:53]
	v_mul_f64 v[14:15], v[32:33], v[12:13]
	v_fma_f64 v[28:29], -v[28:29], v[14:15], v[32:33]
	v_cvt_f64_f32_e32 v[32:33], v50
	v_div_scale_f64 v[50:51], s[14:15], v[18:19], v[18:19], v[32:33]
	v_rcp_f64_e32 v[56:57], v[50:51]
	v_div_fmas_f64 v[12:13], v[28:29], v[12:13], v[14:15]
	v_cvt_f64_f32_e32 v[14:15], v39
	v_div_fixup_f64 v[12:13], v[12:13], v[18:19], v[52:53]
	v_fma_f64 v[28:29], -v[50:51], v[56:57], 1.0
	v_fmac_f64_e32 v[56:57], v[56:57], v[28:29]
	v_fma_f64 v[28:29], -v[50:51], v[56:57], 1.0
	v_fmac_f64_e32 v[56:57], v[56:57], v[28:29]
	v_div_scale_f64 v[28:29], vcc, v[32:33], v[18:19], v[32:33]
	v_mul_f64 v[38:39], v[28:29], v[56:57]
	v_fma_f64 v[28:29], -v[50:51], v[38:39], v[28:29]
	v_mov_b32_e32 v51, -1
	s_nop 0
	v_div_fmas_f64 v[28:29], v[28:29], v[56:57], v[38:39]
	v_div_fixup_f64 v[18:19], v[28:29], v[18:19], v[32:33]
	v_mul_f64 v[18:19], v[18:19], v[32:33]
	v_fma_f64 v[12:13], v[12:13], v[14:15], -v[18:19]
	v_accvgpr_read_b32 v29, a12
	v_accvgpr_read_b32 v33, a21
	;; [unrolled: 1-line block ×3, first 2 shown]
	v_cvt_f32_f64_e32 v61, v[12:13]
.LBB6_102:                              ;   in Loop: Header=BB6_43 Depth=2
	s_or_b64 exec, exec, s[12:13]
	v_cmp_nle_f32_e64 s[12:13], 0, v49
	v_cndmask_b32_e64 v12, v24, -v24, s[12:13]
	v_add_f32_e32 v24, v49, v12
	v_cmp_ngt_f32_e64 s[14:15], |v24|, |v48|
                                        ; implicit-def: $vgpr38
                                        ; implicit-def: $vgpr39
	s_and_saveexec_b64 vcc, s[14:15]
	s_xor_b64 s[36:37], exec, vcc
	s_cbranch_execz .LBB6_106
; %bb.103:                              ;   in Loop: Header=BB6_43 Depth=2
	v_cmp_neq_f32_e32 vcc, 0, v48
	v_mov_b32_e32 v38, 1.0
	v_mov_b32_e32 v39, 0
	s_and_saveexec_b64 s[38:39], vcc
	s_cbranch_execz .LBB6_105
; %bb.104:                              ;   in Loop: Header=BB6_43 Depth=2
	v_div_scale_f32 v12, s[14:15], v48, v48, -v24
	v_rcp_f32_e32 v13, v12
	v_div_scale_f32 v14, vcc, -v24, v48, -v24
	v_fma_f32 v15, -v12, v13, 1.0
	v_fmac_f32_e32 v13, v15, v13
	v_mul_f32_e32 v15, v14, v13
	v_fma_f32 v18, -v12, v15, v14
	v_fmac_f32_e32 v15, v18, v13
	v_fma_f32 v12, -v12, v15, v14
	v_div_fmas_f32 v12, v12, v13, v15
	v_div_fixup_f32 v12, v12, v48, -v24
	v_fma_f32 v13, v12, v12, 1.0
	v_mul_f32_e32 v14, 0x4f800000, v13
	v_cmp_gt_f32_e32 vcc, s46, v13
	v_cndmask_b32_e32 v13, v13, v14, vcc
	v_sqrt_f32_e32 v14, v13
	v_add_u32_e32 v15, -1, v14
	v_fma_f32 v18, -v15, v14, v13
	v_cmp_ge_f32_e64 s[14:15], 0, v18
	v_add_u32_e32 v18, 1, v14
	v_cndmask_b32_e64 v15, v14, v15, s[14:15]
	v_fma_f32 v14, -v18, v14, v13
	v_cmp_lt_f32_e64 s[14:15], 0, v14
	v_cndmask_b32_e64 v14, v15, v18, s[14:15]
	v_mul_f32_e32 v15, 0x37800000, v14
	v_cndmask_b32_e32 v14, v14, v15, vcc
	v_cmp_class_f32_e32 vcc, v13, v8
	v_cndmask_b32_e32 v13, v14, v13, vcc
	v_div_scale_f32 v14, s[14:15], v13, v13, 1.0
	v_rcp_f32_e32 v15, v14
	v_fma_f32 v18, -v14, v15, 1.0
	v_fmac_f32_e32 v15, v18, v15
	v_div_scale_f32 v18, vcc, 1.0, v13, 1.0
	v_mul_f32_e32 v19, v18, v15
	v_fma_f32 v24, -v14, v19, v18
	v_fmac_f32_e32 v19, v24, v15
	v_fma_f32 v14, -v14, v19, v18
	v_div_fmas_f32 v14, v14, v15, v19
	v_div_fixup_f32 v38, v14, v13, 1.0
	v_mul_f32_e32 v39, v12, v38
.LBB6_105:                              ;   in Loop: Header=BB6_43 Depth=2
	s_or_b64 exec, exec, s[38:39]
                                        ; implicit-def: $vgpr24
                                        ; implicit-def: $vgpr48
.LBB6_106:                              ;   in Loop: Header=BB6_43 Depth=2
	s_andn2_saveexec_b64 s[36:37], s[36:37]
	s_cbranch_execz .LBB6_108
; %bb.107:                              ;   in Loop: Header=BB6_43 Depth=2
	v_div_scale_f32 v12, s[14:15], v24, v24, -v48
	v_rcp_f32_e32 v13, v12
	v_div_scale_f32 v14, vcc, -v48, v24, -v48
	v_fma_f32 v15, -v12, v13, 1.0
	v_fmac_f32_e32 v13, v15, v13
	v_mul_f32_e32 v15, v14, v13
	v_fma_f32 v18, -v12, v15, v14
	v_fmac_f32_e32 v15, v18, v13
	v_fma_f32 v12, -v12, v15, v14
	v_div_fmas_f32 v12, v12, v13, v15
	v_div_fixup_f32 v12, v12, v24, -v48
	v_fma_f32 v13, v12, v12, 1.0
	v_mul_f32_e32 v14, 0x4f800000, v13
	v_cmp_gt_f32_e32 vcc, s46, v13
	v_cndmask_b32_e32 v13, v13, v14, vcc
	v_sqrt_f32_e32 v14, v13
	v_add_u32_e32 v15, -1, v14
	v_fma_f32 v18, -v15, v14, v13
	v_cmp_ge_f32_e64 s[14:15], 0, v18
	v_add_u32_e32 v18, 1, v14
	v_cndmask_b32_e64 v15, v14, v15, s[14:15]
	v_fma_f32 v14, -v18, v14, v13
	v_cmp_lt_f32_e64 s[14:15], 0, v14
	v_cndmask_b32_e64 v14, v15, v18, s[14:15]
	v_mul_f32_e32 v15, 0x37800000, v14
	v_cndmask_b32_e32 v14, v14, v15, vcc
	v_cmp_class_f32_e32 vcc, v13, v8
	v_cndmask_b32_e32 v13, v14, v13, vcc
	v_div_scale_f32 v14, s[14:15], v13, v13, 1.0
	v_rcp_f32_e32 v15, v14
	v_fma_f32 v18, -v14, v15, 1.0
	v_fmac_f32_e32 v15, v18, v15
	v_div_scale_f32 v18, vcc, 1.0, v13, 1.0
	v_mul_f32_e32 v19, v18, v15
	v_fma_f32 v24, -v14, v19, v18
	v_fmac_f32_e32 v19, v24, v15
	v_fma_f32 v14, -v14, v19, v18
	v_div_fmas_f32 v14, v14, v15, v19
	v_div_fixup_f32 v39, v14, v13, 1.0
	v_mul_f32_e32 v38, v12, v39
.LBB6_108:                              ;   in Loop: Header=BB6_43 Depth=2
	s_or_b64 exec, exec, s[36:37]
	v_cndmask_b32_e64 v12, 1, -1, s[12:13]
	v_cmp_eq_u32_e32 vcc, v51, v12
	v_accvgpr_read_b32 v12, a22
	v_cndmask_b32_e32 v14, v39, v38, vcc
	v_cndmask_b32_e64 v15, v38, -v39, vcc
	v_add_co_u32_e32 v12, vcc, v12, v58
	v_addc_co_u32_e32 v13, vcc, v33, v59, vcc
	v_accvgpr_read_b32 v18, a28
	flat_store_dword v[12:13], v15
	v_accvgpr_read_b32 v19, a29
	v_add_co_u32_e32 v12, vcc, v12, v18
	v_addc_co_u32_e32 v13, vcc, v13, v19, vcc
	flat_store_dword v[12:13], v14
	flat_store_dwordx2 v[46:47], v[60:61]
	flat_store_dword v[6:7], v25
	v_add_u32_e32 v6, 2, v44
	ds_write_b32 v25, v6
	s_or_b64 exec, exec, s[34:35]
                                        ; implicit-def: $vgpr46_vgpr47
                                        ; implicit-def: $vgpr45
                                        ; implicit-def: $vgpr44
.LBB6_109:                              ;   in Loop: Header=BB6_43 Depth=2
	s_andn2_saveexec_b64 s[12:13], s[30:31]
	s_cbranch_execz .LBB6_111
.LBB6_110:                              ;   in Loop: Header=BB6_43 Depth=2
	v_add_u32_e32 v6, 1, v44
	flat_store_dword v[46:47], v45
	ds_write_b32 v25, v6
.LBB6_111:                              ;   in Loop: Header=BB6_43 Depth=2
	s_or_b64 exec, exec, s[12:13]
.LBB6_112:                              ;   in Loop: Header=BB6_43 Depth=2
	s_or_b64 exec, exec, s[28:29]
	s_waitcnt lgkmcnt(0)
	s_barrier
	ds_read_b64 v[48:49], v25
	s_waitcnt lgkmcnt(0)
	v_cmp_eq_u32_e32 vcc, v49, v48
	s_cbranch_vccnz .LBB6_42
; %bb.113:                              ;   in Loop: Header=BB6_43 Depth=2
	s_and_saveexec_b64 s[28:29], s[8:9]
	s_cbranch_execz .LBB6_41
; %bb.114:                              ;   in Loop: Header=BB6_43 Depth=2
	ds_read_b32 v6, v25 offset:16
	v_accvgpr_read_b32 v14, a18
	s_mov_b64 s[30:31], 0
	v_mov_b32_e32 v44, v0
	s_waitcnt lgkmcnt(0)
	v_mul_lo_u32 v12, v6, v20
	v_ashrrev_i32_e32 v13, 31, v12
	v_lshlrev_b64 v[12:13], 2, v[12:13]
	v_add_co_u32_e32 v52, vcc, v29, v12
	v_sub_u32_e32 v60, v49, v6
	v_addc_co_u32_e32 v53, vcc, v14, v13, vcc
	v_mad_i64_i32 v[14:15], s[12:13], v60, v20, 0
	v_add_u32_e32 v24, -1, v60
	v_lshlrev_b64 v[14:15], 2, v[14:15]
	v_mad_u64_u32 v[12:13], s[14:15], v30, v24, v[12:13]
	v_add_co_u32_e32 v38, vcc, v52, v14
	v_mov_b32_e32 v14, v13
	v_addc_co_u32_e32 v39, vcc, v53, v15, vcc
	v_mad_u64_u32 v[14:15], s[14:15], v31, v24, v[14:15]
	v_mov_b32_e32 v13, v14
	v_accvgpr_read_b32 v14, a31
	v_ashrrev_i32_e32 v7, 31, v6
	v_add_co_u32_e32 v48, vcc, v14, v12
	v_accvgpr_read_b32 v12, a32
	v_addc_co_u32_e32 v49, vcc, v12, v13, vcc
	v_lshlrev_b64 v[6:7], 2, v[6:7]
	v_lshlrev_b64 v[12:13], 2, v[24:25]
	v_add_co_u32_e32 v6, vcc, v6, v12
	v_addc_co_u32_e32 v7, vcc, v7, v13, vcc
	v_accvgpr_read_b32 v12, a22
	v_add_co_u32_e32 v50, vcc, v12, v6
	v_cmp_lt_i32_e64 s[12:13], 0, v60
	v_addc_co_u32_e32 v51, vcc, v33, v7, vcc
	s_branch .LBB6_116
.LBB6_115:                              ;   in Loop: Header=BB6_116 Depth=3
	v_add_u32_e32 v44, v44, v22
	v_cmp_ge_i32_e32 vcc, v44, v2
	s_or_b64 s[30:31], vcc, s[30:31]
	v_add_co_u32_e32 v48, vcc, v48, v26
	v_addc_co_u32_e32 v49, vcc, v49, v27, vcc
	s_waitcnt vmcnt(0) lgkmcnt(0)
	flat_store_dword v[46:47], v45
	s_andn2_b64 exec, exec, s[30:31]
	s_cbranch_execz .LBB6_41
.LBB6_116:                              ;   Parent Loop BB6_6 Depth=1
                                        ;     Parent Loop BB6_43 Depth=2
                                        ; =>    This Loop Header: Depth=3
                                        ;         Child Loop BB6_117 Depth 4
	v_ashrrev_i32_e32 v45, 31, v44
	v_lshlrev_b64 v[6:7], 2, v[44:45]
	v_add_co_u32_e32 v12, vcc, v38, v6
	v_addc_co_u32_e32 v13, vcc, v39, v7, vcc
	flat_load_dword v45, v[12:13]
	v_add_co_u32_e32 v46, vcc, v52, v6
	v_addc_co_u32_e32 v47, vcc, v53, v7, vcc
	s_andn2_b64 vcc, exec, s[12:13]
	v_pk_mov_b32 v[56:57], v[50:51], v[50:51] op_sel:[0,1]
	v_pk_mov_b32 v[58:59], v[48:49], v[48:49] op_sel:[0,1]
	v_mov_b32_e32 v24, v60
	s_cbranch_vccnz .LBB6_115
.LBB6_117:                              ;   Parent Loop BB6_6 Depth=1
                                        ;     Parent Loop BB6_43 Depth=2
                                        ;       Parent Loop BB6_116 Depth=3
                                        ; =>      This Inner Loop Header: Depth=4
	v_add_co_u32_e32 v6, vcc, v56, v3
	v_addc_co_u32_e32 v7, vcc, v57, v23, vcc
	flat_load_dword v14, v[58:59]
	flat_load_dword v15, v[56:57]
	;; [unrolled: 1-line block ×3, first 2 shown]
	v_mad_u64_u32 v[6:7], s[14:15], v24, v20, 0
	v_add_co_u32_e32 v58, vcc, v58, v1
	v_mov_b32_e32 v12, v7
	v_addc_co_u32_e32 v59, vcc, v59, v17, vcc
	v_mad_u64_u32 v[12:13], s[14:15], v24, v21, v[12:13]
	v_add_co_u32_e32 v56, vcc, -4, v56
	v_mov_b32_e32 v7, v12
	v_add_u32_e32 v19, -1, v24
	v_addc_co_u32_e32 v57, vcc, -1, v57, vcc
	v_lshlrev_b64 v[6:7], 2, v[6:7]
	s_waitcnt vmcnt(0) lgkmcnt(0)
	v_mov_b32_e32 v28, v45
	v_cmp_eq_u32_e32 vcc, 0, v19
	v_add_co_u32_e64 v6, s[14:15], v46, v6
	s_and_b64 vcc, exec, vcc
	v_mov_b32_e32 v24, v19
	v_addc_co_u32_e64 v7, s[14:15], v47, v7, s[14:15]
	v_mul_f32_e32 v45, v15, v14
	v_mul_f32_e32 v12, v18, v14
	v_fmac_f32_e32 v45, v28, v18
	v_fma_f32 v12, v28, v15, -v12
	flat_store_dword v[6:7], v12
	s_cbranch_vccz .LBB6_117
	s_branch .LBB6_115
.LBB6_118:                              ;   in Loop: Header=BB6_43 Depth=2
	s_or_b64 exec, exec, s[34:35]
                                        ; implicit-def: $vgpr46_vgpr47
                                        ; implicit-def: $vgpr45
                                        ; implicit-def: $vgpr44
	s_andn2_saveexec_b64 s[12:13], s[30:31]
	s_cbranch_execnz .LBB6_110
	s_branch .LBB6_111
.LBB6_119:                              ;   in Loop: Header=BB6_6 Depth=1
	v_lshlrev_b64 v[32:33], 2, v[54:55]
	v_add_co_u32_e32 v48, vcc, v9, v32
	v_addc_co_u32_e32 v49, vcc, v4, v33, vcc
	v_add_co_u32_e32 v50, vcc, v5, v32
	v_addc_co_u32_e32 v51, vcc, v62, v33, vcc
	s_mov_b64 s[28:29], 0
	v_pk_mov_b32 v[40:41], v[54:55], v[54:55] op_sel:[0,1]
                                        ; implicit-def: $sgpr26_sgpr27
                                        ; implicit-def: $sgpr34_sgpr35
                                        ; implicit-def: $sgpr30_sgpr31
	s_branch .LBB6_121
.LBB6_120:                              ;   in Loop: Header=BB6_121 Depth=2
	s_or_b64 exec, exec, s[10:11]
	s_xor_b64 s[10:11], s[30:31], -1
	s_and_b64 vcc, exec, s[34:35]
	s_or_b64 s[28:29], vcc, s[28:29]
	s_andn2_b64 s[26:27], s[26:27], exec
	s_and_b64 s[10:11], s[10:11], exec
	s_or_b64 s[26:27], s[26:27], s[10:11]
	s_andn2_b64 exec, exec, s[28:29]
	s_cbranch_execz .LBB6_124
.LBB6_121:                              ;   Parent Loop BB6_6 Depth=1
                                        ; =>  This Inner Loop Header: Depth=2
	flat_load_dword v6, v[50:51]
	flat_load_dwordx2 v[38:39], v[48:49]
	v_pk_mov_b32 v[18:19], v[40:41], v[40:41] op_sel:[0,1]
	v_pk_mov_b32 v[34:35], v[50:51], v[50:51] op_sel:[0,1]
	s_or_b64 s[30:31], s[30:31], exec
	s_or_b64 s[34:35], s[34:35], exec
                                        ; implicit-def: $vgpr40_vgpr41
                                        ; implicit-def: $vgpr50_vgpr51
	s_waitcnt vmcnt(0) lgkmcnt(0)
	v_cmp_lt_f32_e64 vcc, |v39|, s46
	v_mul_f32_e64 v7, |v39|, s47
	v_cndmask_b32_e64 v7, |v39|, v7, vcc
	v_sqrt_f32_e32 v12, v7
	v_add_u32_e32 v13, -1, v12
	v_fma_f32 v14, -v13, v12, v7
	v_cmp_ge_f32_e64 s[10:11], 0, v14
	v_add_u32_e32 v14, 1, v12
	v_cndmask_b32_e64 v13, v12, v13, s[10:11]
	v_fma_f32 v12, -v14, v12, v7
	v_cmp_lt_f32_e64 s[10:11], 0, v12
	v_cndmask_b32_e64 v12, v13, v14, s[10:11]
	v_mul_f32_e32 v13, 0x37800000, v12
	v_cndmask_b32_e32 v12, v12, v13, vcc
	v_cmp_class_f32_e32 vcc, v7, v8
	v_cndmask_b32_e32 v7, v12, v7, vcc
	v_cmp_lt_f32_e64 vcc, |v38|, s46
	v_mul_f32_e64 v12, |v38|, s47
	v_cndmask_b32_e64 v12, |v38|, v12, vcc
	v_sqrt_f32_e32 v13, v12
	v_add_u32_e32 v14, -1, v13
	v_fma_f32 v15, -v14, v13, v12
	v_cmp_ge_f32_e64 s[10:11], 0, v15
	v_add_u32_e32 v15, 1, v13
	v_cndmask_b32_e64 v14, v13, v14, s[10:11]
	v_fma_f32 v13, -v15, v13, v12
	v_cmp_lt_f32_e64 s[10:11], 0, v13
	v_cndmask_b32_e64 v13, v14, v15, s[10:11]
	v_mul_f32_e32 v14, 0x37800000, v13
	v_cndmask_b32_e32 v13, v13, v14, vcc
	v_cmp_class_f32_e32 vcc, v12, v8
	v_cndmask_b32_e32 v12, v13, v12, vcc
	v_mul_f32_e32 v7, v12, v7
	v_mul_f32_e32 v7, v7, v59
	v_cmp_nle_f32_e64 vcc, |v6|, v7
	s_and_saveexec_b64 s[10:11], vcc
	s_cbranch_execz .LBB6_120
; %bb.122:                              ;   in Loop: Header=BB6_121 Depth=2
	v_add_co_u32_e32 v40, vcc, 1, v18
	v_addc_co_u32_e32 v41, vcc, 0, v19, vcc
	v_add_co_u32_e32 v48, vcc, 4, v48
	v_addc_co_u32_e32 v49, vcc, 0, v49, vcc
	;; [unrolled: 2-line block ×3, first 2 shown]
	v_cmp_ge_i32_e32 vcc, v40, v56
	s_andn2_b64 s[34:35], s[34:35], exec
	s_and_b64 vcc, vcc, exec
	s_andn2_b64 s[30:31], s[30:31], exec
	s_or_b64 s[34:35], s[34:35], vcc
	s_branch .LBB6_120
.LBB6_123:                              ;   in Loop: Header=BB6_6 Depth=1
                                        ; implicit-def: $agpr0_agpr1
                                        ; implicit-def: $vgpr42_vgpr43
                                        ; implicit-def: $vgpr55
	s_branch .LBB6_128
.LBB6_124:                              ;   in Loop: Header=BB6_6 Depth=1
	s_or_b64 exec, exec, s[28:29]
	s_andn2_b64 s[14:15], s[14:15], exec
	s_and_b64 s[26:27], s[26:27], exec
	v_accvgpr_write_b32 a2, v54
	s_mov_b64 s[10:11], exec
	s_or_b64 s[14:15], s[14:15], s[26:27]
	v_accvgpr_write_b32 a3, v55
	v_mov_b32_e32 v24, v56
	v_pk_mov_b32 v[48:49], v[56:57], v[56:57] op_sel:[0,1]
	v_pk_mov_b32 v[50:51], v[54:55], v[54:55] op_sel:[0,1]
	v_accvgpr_read_b32 v32, a20
	v_accvgpr_read_b32 v33, a21
	s_or_b64 exec, exec, s[24:25]
	s_and_saveexec_b64 s[24:25], s[14:15]
	s_cbranch_execz .LBB6_13
.LBB6_125:                              ;   in Loop: Header=BB6_6 Depth=1
	ds_write_b32 v25, v24 offset:4
	s_andn2_b64 s[10:11], s[10:11], exec
	s_or_b64 exec, exec, s[24:25]
	s_and_saveexec_b64 s[14:15], s[10:11]
	s_cbranch_execnz .LBB6_14
	s_branch .LBB6_15
.LBB6_126:                              ;   in Loop: Header=BB6_6 Depth=1
	s_or_b64 exec, exec, s[26:27]
	v_accvgpr_read_b32 v57, a17
	v_accvgpr_read_b32 v56, a16
	;; [unrolled: 1-line block ×6, first 2 shown]
.LBB6_127:                              ;   in Loop: Header=BB6_6 Depth=1
	s_or_b64 exec, exec, s[24:25]
	s_cbranch_execnz .LBB6_210
.LBB6_128:                              ;   in Loop: Header=BB6_6 Depth=1
	s_and_saveexec_b64 s[14:15], s[10:11]
	s_cbranch_execz .LBB6_209
; %bb.129:                              ;   in Loop: Header=BB6_6 Depth=1
	s_mov_b64 s[24:25], 0
	s_branch .LBB6_132
.LBB6_130:                              ;   in Loop: Header=BB6_132 Depth=2
	s_or_b64 exec, exec, s[12:13]
	s_waitcnt lgkmcnt(0)
	s_barrier
	ds_read_b32 v54, v25
.LBB6_131:                              ;   in Loop: Header=BB6_132 Depth=2
	ds_read2_b32 v[40:41], v25 offset0:5 offset1:7
	s_waitcnt lgkmcnt(0)
	v_cmp_lt_i32_e32 vcc, v54, v40
	v_cmp_ge_i32_e64 s[10:11], v41, v32
	s_or_b64 s[10:11], vcc, s[10:11]
	s_and_b64 s[10:11], exec, s[10:11]
	s_or_b64 s[24:25], s[10:11], s[24:25]
	s_andn2_b64 exec, exec, s[24:25]
	s_cbranch_execz .LBB6_208
.LBB6_132:                              ;   Parent Loop BB6_6 Depth=1
                                        ; =>  This Loop Header: Depth=2
                                        ;       Child Loop BB6_138 Depth 3
                                        ;       Child Loop BB6_158 Depth 3
	;; [unrolled: 1-line block ×3, first 2 shown]
                                        ;         Child Loop BB6_206 Depth 4
	s_and_saveexec_b64 s[26:27], s[4:5]
	s_cbranch_execz .LBB6_201
; %bb.133:                              ;   in Loop: Header=BB6_132 Depth=2
	v_cmp_gt_i32_e32 vcc, v54, v40
	s_mov_b64 s[12:13], 0
	s_cbranch_vccnz .LBB6_135
; %bb.134:                              ;   in Loop: Header=BB6_132 Depth=2
	v_ashrrev_i32_e32 v55, 31, v54
	s_mov_b64 s[10:11], -1
	v_pk_mov_b32 v[48:49], v[54:55], v[54:55] op_sel:[0,1]
	v_mov_b32_e32 v44, v54
	s_cbranch_execz .LBB6_136
	s_branch .LBB6_141
.LBB6_135:                              ;   in Loop: Header=BB6_132 Depth=2
                                        ; implicit-def: $vgpr48_vgpr49
	s_mov_b64 s[10:11], 0
	v_mov_b32_e32 v44, v54
.LBB6_136:                              ;   in Loop: Header=BB6_132 Depth=2
	v_ashrrev_i32_e32 v55, 31, v54
	v_lshlrev_b64 v[6:7], 2, v[54:55]
	v_accvgpr_read_b32 v10, a27
	v_add_co_u32_e32 v38, vcc, v10, v6
	v_accvgpr_read_b32 v10, a30
	v_addc_co_u32_e32 v39, vcc, v10, v7, vcc
	v_add_co_u32_e32 v48, vcc, v61, v6
	v_accvgpr_read_b32 v6, a24
	v_addc_co_u32_e32 v49, vcc, v6, v7, vcc
	v_mov_b32_e32 v24, v54
                                        ; implicit-def: $sgpr10_sgpr11
                                        ; implicit-def: $sgpr30_sgpr31
                                        ; implicit-def: $sgpr28_sgpr29
	s_branch .LBB6_138
.LBB6_137:                              ;   in Loop: Header=BB6_138 Depth=3
	s_or_b64 exec, exec, s[34:35]
	s_xor_b64 vcc, s[28:29], -1
	s_and_b64 s[34:35], exec, s[30:31]
	s_or_b64 s[12:13], s[34:35], s[12:13]
	s_andn2_b64 s[10:11], s[10:11], exec
	s_and_b64 vcc, vcc, exec
	s_or_b64 s[10:11], s[10:11], vcc
	s_andn2_b64 exec, exec, s[12:13]
	s_cbranch_execz .LBB6_140
.LBB6_138:                              ;   Parent Loop BB6_6 Depth=1
                                        ;     Parent Loop BB6_132 Depth=2
                                        ; =>    This Inner Loop Header: Depth=3
	flat_load_dwordx2 v[6:7], v[38:39]
	flat_load_dword v12, v[48:49]
	v_pk_mov_b32 v[36:37], v[48:49], v[48:49] op_sel:[0,1]
	v_mov_b32_e32 v10, v24
	s_or_b64 s[28:29], s[28:29], exec
	s_or_b64 s[30:31], s[30:31], exec
                                        ; implicit-def: $vgpr24
                                        ; implicit-def: $vgpr48_vgpr49
	s_waitcnt vmcnt(0) lgkmcnt(0)
	v_mul_f32_e32 v6, v7, v6
	v_mul_f32_e32 v7, v12, v12
	v_mul_f32_e64 v6, v11, |v6|
	v_cmp_nle_f32_e64 vcc, |v7|, v6
	s_and_saveexec_b64 s[34:35], vcc
	s_cbranch_execz .LBB6_137
; %bb.139:                              ;   in Loop: Header=BB6_138 Depth=3
	v_add_co_u32_e32 v38, vcc, -4, v38
	v_addc_co_u32_e32 v39, vcc, -1, v39, vcc
	v_add_co_u32_e32 v48, vcc, -4, v36
	v_add_u32_e32 v24, -1, v10
	v_addc_co_u32_e32 v49, vcc, -1, v37, vcc
	v_cmp_le_i32_e32 vcc, v24, v40
	s_andn2_b64 s[30:31], s[30:31], exec
	s_and_b64 vcc, vcc, exec
	s_andn2_b64 s[28:29], s[28:29], exec
	s_or_b64 s[30:31], s[30:31], vcc
	s_branch .LBB6_137
.LBB6_140:                              ;   in Loop: Header=BB6_132 Depth=2
	s_or_b64 exec, exec, s[12:13]
	v_accvgpr_write_b32 a10, v54
	s_mov_b64 s[12:13], -1
	v_accvgpr_write_b32 a11, v55
	v_mov_b32_e32 v44, v40
	v_pk_mov_b32 v[48:49], v[54:55], v[54:55] op_sel:[0,1]
.LBB6_141:                              ;   in Loop: Header=BB6_132 Depth=2
	s_and_saveexec_b64 s[28:29], s[10:11]
	s_cbranch_execnz .LBB6_170
; %bb.142:                              ;   in Loop: Header=BB6_132 Depth=2
	s_or_b64 exec, exec, s[28:29]
	s_and_saveexec_b64 s[10:11], s[12:13]
	s_cbranch_execz .LBB6_144
.LBB6_143:                              ;   in Loop: Header=BB6_132 Depth=2
	v_accvgpr_read_b32 v49, a11
	v_accvgpr_read_b32 v48, a10
	v_mov_b32_e32 v44, v10
	ds_write2_b32 v25, v10, v54 offset0:1 offset1:4
	flat_store_dword v[36:37], v25
.LBB6_144:                              ;   in Loop: Header=BB6_132 Depth=2
	s_or_b64 exec, exec, s[10:11]
	v_lshlrev_b64 v[46:47], 2, v[48:49]
	v_add_co_u32_e32 v42, vcc, v9, v46
	v_addc_co_u32_e32 v43, vcc, v4, v47, vcc
	flat_load_dword v55, v[42:43]
	v_cmp_ne_u32_e32 vcc, v44, v54
	s_waitcnt vmcnt(0) lgkmcnt(0)
	ds_write_b32 v25, v55 offset:8
	s_and_saveexec_b64 s[10:11], vcc
	s_xor_b64 s[28:29], exec, s[10:11]
	s_cbranch_execz .LBB6_198
; %bb.145:                              ;   in Loop: Header=BB6_132 Depth=2
	v_add_u32_e32 v6, -1, v54
	v_cmp_ne_u32_e32 vcc, v44, v6
	s_and_saveexec_b64 s[10:11], vcc
	s_xor_b64 s[30:31], exec, s[10:11]
	s_cbranch_execz .LBB6_174
; %bb.146:                              ;   in Loop: Header=BB6_132 Depth=2
	v_add_co_u32_e32 v6, vcc, -4, v42
	v_addc_co_u32_e32 v7, vcc, -1, v43, vcc
	flat_load_dword v6, v[6:7]
	v_add_co_u32_e32 v46, vcc, v61, v46
	v_accvgpr_read_b32 v7, a24
	v_addc_co_u32_e32 v47, vcc, v7, v47, vcc
	flat_load_dword v7, v[46:47]
	v_ashrrev_i32_e32 v45, 31, v44
	v_lshlrev_b64 v[50:51], 2, v[44:45]
	v_add_co_u32_e32 v48, vcc, v9, v50
	v_addc_co_u32_e32 v49, vcc, v4, v51, vcc
	flat_load_dword v12, v[48:49]
	v_mov_b32_e32 v38, 0
	s_waitcnt vmcnt(0) lgkmcnt(0)
	v_sub_f32_e32 v6, v6, v55
	v_add_f32_e32 v13, v7, v7
	v_div_scale_f32 v14, s[10:11], v13, v13, v6
	v_rcp_f32_e32 v15, v14
	v_div_scale_f32 v18, vcc, v6, v13, v6
	v_cmp_lt_i32_e64 s[10:11], v44, v54
	v_fma_f32 v19, -v14, v15, 1.0
	v_fmac_f32_e32 v15, v19, v15
	v_mul_f32_e32 v19, v18, v15
	v_fma_f32 v24, -v14, v19, v18
	v_fmac_f32_e32 v19, v24, v15
	v_fma_f32 v14, -v14, v19, v18
	v_div_fmas_f32 v14, v14, v15, v19
	v_div_fixup_f32 v6, v14, v13, v6
	v_fma_f32 v13, v6, v6, 1.0
	v_mul_f32_e32 v14, 0x4f800000, v13
	v_cmp_gt_f32_e32 vcc, s46, v13
	v_cndmask_b32_e32 v13, v13, v14, vcc
	v_sqrt_f32_e32 v14, v13
	v_add_u32_e32 v15, 1, v41
	ds_write2_b32 v25, v25, v15 offset0:2 offset1:7
	v_sub_f32_e32 v12, v12, v55
	v_add_u32_e32 v15, -1, v14
	v_add_u32_e32 v18, 1, v14
	v_fma_f32 v19, -v15, v14, v13
	v_fma_f32 v24, -v18, v14, v13
	v_cmp_ge_f32_e64 s[12:13], 0, v19
	v_cndmask_b32_e64 v14, v14, v15, s[12:13]
	v_cmp_lt_f32_e64 s[12:13], 0, v24
	v_cndmask_b32_e64 v14, v14, v18, s[12:13]
	v_mul_f32_e32 v15, 0x37800000, v14
	v_cndmask_b32_e32 v14, v14, v15, vcc
	v_cmp_class_f32_e32 vcc, v13, v8
	v_cndmask_b32_e32 v13, v14, v13, vcc
	v_cmp_nle_f32_e32 vcc, 0, v6
	v_cndmask_b32_e64 v13, |v13|, -|v13|, vcc
	v_add_f32_e32 v6, v6, v13
	v_div_scale_f32 v13, s[12:13], v6, v6, v7
	v_rcp_f32_e32 v14, v13
	v_div_scale_f32 v15, vcc, v7, v6, v7
	v_fma_f32 v18, -v13, v14, 1.0
	v_fmac_f32_e32 v14, v18, v14
	v_mul_f32_e32 v18, v15, v14
	v_fma_f32 v19, -v13, v18, v15
	v_fmac_f32_e32 v18, v19, v14
	v_fma_f32 v13, -v13, v18, v15
	v_div_fmas_f32 v13, v13, v14, v18
	v_div_fixup_f32 v6, v13, v6, v7
	v_add_f32_e32 v24, v12, v6
	s_and_saveexec_b64 s[12:13], s[10:11]
	s_cbranch_execz .LBB6_173
; %bb.147:                              ;   in Loop: Header=BB6_132 Depth=2
	v_add_co_u32_e32 v6, vcc, v5, v50
	v_addc_co_u32_e32 v7, vcc, v62, v51, vcc
	flat_load_dword v41, v[6:7]
	v_mov_b32_e32 v55, 1.0
	v_mov_b32_e32 v38, 0
	s_waitcnt vmcnt(0) lgkmcnt(0)
	v_cmp_neq_f32_e32 vcc, 0, v41
	s_and_saveexec_b64 s[34:35], vcc
	s_cbranch_execz .LBB6_155
; %bb.148:                              ;   in Loop: Header=BB6_132 Depth=2
	v_cmp_neq_f32_e32 vcc, 0, v24
	v_mov_b32_e32 v38, 1.0
	v_mov_b32_e32 v55, 0
	s_and_saveexec_b64 s[36:37], vcc
	s_cbranch_execz .LBB6_154
; %bb.149:                              ;   in Loop: Header=BB6_132 Depth=2
	v_cmp_ngt_f32_e64 s[10:11], |v41|, |v24|
                                        ; implicit-def: $vgpr38
                                        ; implicit-def: $vgpr55
	s_and_saveexec_b64 vcc, s[10:11]
	s_xor_b64 s[38:39], exec, vcc
	s_cbranch_execz .LBB6_151
; %bb.150:                              ;   in Loop: Header=BB6_132 Depth=2
	v_div_scale_f32 v6, s[10:11], v24, v24, -v41
	v_rcp_f32_e32 v7, v6
	v_div_scale_f32 v12, vcc, -v41, v24, -v41
	v_fma_f32 v13, -v6, v7, 1.0
	v_fmac_f32_e32 v7, v13, v7
	v_mul_f32_e32 v13, v12, v7
	v_fma_f32 v14, -v6, v13, v12
	v_fmac_f32_e32 v13, v14, v7
	v_fma_f32 v6, -v6, v13, v12
	v_div_fmas_f32 v6, v6, v7, v13
	v_div_fixup_f32 v6, v6, v24, -v41
	v_fma_f32 v7, v6, v6, 1.0
	v_mul_f32_e32 v12, 0x4f800000, v7
	v_cmp_gt_f32_e32 vcc, s46, v7
	v_cndmask_b32_e32 v7, v7, v12, vcc
	v_sqrt_f32_e32 v12, v7
                                        ; implicit-def: $vgpr24
	v_add_u32_e32 v13, -1, v12
	v_fma_f32 v14, -v13, v12, v7
	v_cmp_ge_f32_e64 s[10:11], 0, v14
	v_add_u32_e32 v14, 1, v12
	v_cndmask_b32_e64 v13, v12, v13, s[10:11]
	v_fma_f32 v12, -v14, v12, v7
	v_cmp_lt_f32_e64 s[10:11], 0, v12
	v_cndmask_b32_e64 v12, v13, v14, s[10:11]
	v_mul_f32_e32 v13, 0x37800000, v12
	v_cndmask_b32_e32 v12, v12, v13, vcc
	v_cmp_class_f32_e32 vcc, v7, v8
	v_cndmask_b32_e32 v7, v12, v7, vcc
	v_div_scale_f32 v12, s[10:11], v7, v7, 1.0
	v_rcp_f32_e32 v13, v12
	v_fma_f32 v14, -v12, v13, 1.0
	v_fmac_f32_e32 v13, v14, v13
	v_div_scale_f32 v14, vcc, 1.0, v7, 1.0
	v_mul_f32_e32 v15, v14, v13
	v_fma_f32 v18, -v12, v15, v14
	v_fmac_f32_e32 v15, v18, v13
	v_fma_f32 v12, -v12, v15, v14
	v_div_fmas_f32 v12, v12, v13, v15
	v_div_fixup_f32 v55, v12, v7, 1.0
	v_mul_f32_e32 v38, v6, v55
.LBB6_151:                              ;   in Loop: Header=BB6_132 Depth=2
	s_andn2_saveexec_b64 s[38:39], s[38:39]
	s_cbranch_execz .LBB6_153
; %bb.152:                              ;   in Loop: Header=BB6_132 Depth=2
	v_div_scale_f32 v6, s[10:11], v41, v41, -v24
	v_rcp_f32_e32 v7, v6
	v_div_scale_f32 v12, vcc, -v24, v41, -v24
	v_fma_f32 v13, -v6, v7, 1.0
	v_fmac_f32_e32 v7, v13, v7
	v_mul_f32_e32 v13, v12, v7
	v_fma_f32 v14, -v6, v13, v12
	v_fmac_f32_e32 v13, v14, v7
	v_fma_f32 v6, -v6, v13, v12
	v_div_fmas_f32 v6, v6, v7, v13
	v_div_fixup_f32 v6, v6, v41, -v24
	v_fma_f32 v7, v6, v6, 1.0
	v_mul_f32_e32 v12, 0x4f800000, v7
	v_cmp_gt_f32_e32 vcc, s46, v7
	v_cndmask_b32_e32 v7, v7, v12, vcc
	v_sqrt_f32_e32 v12, v7
	v_add_u32_e32 v13, -1, v12
	v_fma_f32 v14, -v13, v12, v7
	v_cmp_ge_f32_e64 s[10:11], 0, v14
	v_add_u32_e32 v14, 1, v12
	v_cndmask_b32_e64 v13, v12, v13, s[10:11]
	v_fma_f32 v12, -v14, v12, v7
	v_cmp_lt_f32_e64 s[10:11], 0, v12
	v_cndmask_b32_e64 v12, v13, v14, s[10:11]
	v_mul_f32_e32 v13, 0x37800000, v12
	v_cndmask_b32_e32 v12, v12, v13, vcc
	v_cmp_class_f32_e32 vcc, v7, v8
	v_cndmask_b32_e32 v7, v12, v7, vcc
	v_div_scale_f32 v12, s[10:11], v7, v7, 1.0
	v_rcp_f32_e32 v13, v12
	v_fma_f32 v14, -v12, v13, 1.0
	v_fmac_f32_e32 v13, v14, v13
	v_div_scale_f32 v14, vcc, 1.0, v7, 1.0
	v_mul_f32_e32 v15, v14, v13
	v_fma_f32 v18, -v12, v15, v14
	v_fmac_f32_e32 v15, v18, v13
	v_fma_f32 v12, -v12, v15, v14
	v_div_fmas_f32 v12, v12, v13, v15
	v_div_fixup_f32 v38, v12, v7, 1.0
	v_mul_f32_e32 v55, v6, v38
.LBB6_153:                              ;   in Loop: Header=BB6_132 Depth=2
	s_or_b64 exec, exec, s[38:39]
.LBB6_154:                              ;   in Loop: Header=BB6_132 Depth=2
	s_or_b64 exec, exec, s[36:37]
.LBB6_155:                              ;   in Loop: Header=BB6_132 Depth=2
	s_or_b64 exec, exec, s[34:35]
	flat_load_dwordx2 v[6:7], v[48:49]
	v_add_co_u32_e32 v12, vcc, v60, v50
	v_addc_co_u32_e32 v13, vcc, v33, v51, vcc
	v_accvgpr_read_b32 v14, a28
	v_add_f32_e32 v18, v55, v55
	v_accvgpr_read_b32 v15, a29
	v_add_co_u32_e32 v14, vcc, v12, v14
	v_add_u32_e32 v40, 1, v44
	v_addc_co_u32_e32 v15, vcc, v13, v15, vcc
	v_xor_b32_e32 v39, 0x80000000, v38
	v_cmp_lt_i32_e32 vcc, v40, v54
	s_waitcnt vmcnt(0) lgkmcnt(0)
	v_sub_f32_e32 v7, v7, v6
	v_mul_f32_e32 v7, v38, v7
	v_fma_f32 v7, v41, v18, -v7
	v_mul_f32_e64 v18, v7, -v38
	v_fma_f32 v6, v7, -v38, v6
	v_fma_f32 v24, v55, v7, -v41
	ds_write_b32 v25, v18 offset:8
	flat_store_dword v[48:49], v6
	flat_store_dword v[12:13], v55
	;; [unrolled: 1-line block ×3, first 2 shown]
	s_and_saveexec_b64 s[34:35], vcc
	s_cbranch_execz .LBB6_172
; %bb.156:                              ;   in Loop: Header=BB6_132 Depth=2
	v_ashrrev_i32_e32 v41, 31, v40
	v_lshlrev_b64 v[6:7], 2, v[40:41]
	v_add_co_u32_e32 v40, vcc, v60, v6
	v_addc_co_u32_e32 v41, vcc, v33, v7, vcc
	v_add_co_u32_e32 v50, vcc, v9, v6
	v_addc_co_u32_e32 v51, vcc, v4, v7, vcc
	v_add_co_u32_e32 v48, vcc, v61, v6
	v_accvgpr_read_b32 v6, a24
	v_addc_co_u32_e32 v49, vcc, v6, v7, vcc
	s_mov_b32 s44, 1
	s_mov_b64 s[36:37], 0
	s_branch .LBB6_158
.LBB6_157:                              ;   in Loop: Header=BB6_158 Depth=3
	flat_load_dwordx2 v[6:7], v[50:51]
	ds_read_b32 v19, v25 offset:8
	v_add_co_u32_e32 v48, vcc, 4, v48
	v_addc_co_u32_e32 v49, vcc, 0, v49, vcc
	v_add_co_u32_e32 v12, vcc, 4, v50
	v_addc_co_u32_e32 v13, vcc, 0, v51, vcc
	v_accvgpr_read_b32 v14, a28
	v_mul_f32_e32 v18, v55, v45
	v_add_f32_e32 v24, v53, v53
	v_accvgpr_read_b32 v15, a29
	v_add_co_u32_e32 v14, vcc, v40, v14
	s_add_i32 s44, s44, 1
	v_addc_co_u32_e32 v15, vcc, v41, v15, vcc
	v_add_u32_e32 v28, s44, v44
	v_cmp_ge_i32_e32 vcc, v28, v54
	v_xor_b32_e32 v39, 0x80000000, v38
	s_or_b64 s[36:37], vcc, s[36:37]
	v_mov_b32_e32 v55, v53
	s_waitcnt vmcnt(0) lgkmcnt(0)
	v_sub_f32_e32 v6, v6, v19
	v_sub_f32_e32 v7, v7, v6
	v_mul_f32_e32 v7, v38, v7
	v_fma_f32 v7, v18, v24, -v7
	v_mul_f32_e64 v19, v7, -v38
	v_fma_f32 v6, v7, -v38, v6
	ds_write_b32 v25, v19 offset:8
	flat_store_dword v[50:51], v6
	flat_store_dword v[40:41], v53
	;; [unrolled: 1-line block ×3, first 2 shown]
	v_add_co_u32_e32 v40, vcc, 4, v40
	v_fma_f32 v24, v53, v7, -v18
	v_addc_co_u32_e32 v41, vcc, 0, v41, vcc
	v_pk_mov_b32 v[50:51], v[12:13], v[12:13] op_sel:[0,1]
	s_andn2_b64 exec, exec, s[36:37]
	s_cbranch_execz .LBB6_171
.LBB6_158:                              ;   Parent Loop BB6_6 Depth=1
                                        ;     Parent Loop BB6_132 Depth=2
                                        ; =>    This Inner Loop Header: Depth=3
	flat_load_dword v45, v[48:49] offset:4
	v_mov_b32_e32 v53, 1.0
	v_mov_b32_e32 v38, 0
	s_waitcnt vmcnt(0) lgkmcnt(0)
	v_mul_f32_e32 v52, v39, v45
	v_cmp_neq_f32_e32 vcc, 0, v52
	s_and_saveexec_b64 s[38:39], vcc
	s_cbranch_execz .LBB6_168
; %bb.159:                              ;   in Loop: Header=BB6_158 Depth=3
	v_cmp_neq_f32_e32 vcc, 0, v24
                                        ; implicit-def: $vgpr38
                                        ; implicit-def: $vgpr53
	s_and_saveexec_b64 s[10:11], vcc
	s_xor_b64 s[40:41], exec, s[10:11]
	s_cbranch_execz .LBB6_165
; %bb.160:                              ;   in Loop: Header=BB6_158 Depth=3
	v_cmp_ngt_f32_e64 s[10:11], |v52|, |v24|
                                        ; implicit-def: $vgpr38
                                        ; implicit-def: $vgpr53
	s_and_saveexec_b64 vcc, s[10:11]
	s_xor_b64 s[42:43], exec, vcc
	s_cbranch_execz .LBB6_162
; %bb.161:                              ;   in Loop: Header=BB6_158 Depth=3
	v_div_scale_f32 v6, s[10:11], v24, v24, -v52
	v_rcp_f32_e32 v7, v6
	v_div_scale_f32 v12, vcc, -v52, v24, -v52
	v_fma_f32 v13, -v6, v7, 1.0
	v_fmac_f32_e32 v7, v13, v7
	v_mul_f32_e32 v13, v12, v7
	v_fma_f32 v14, -v6, v13, v12
	v_fmac_f32_e32 v13, v14, v7
	v_fma_f32 v6, -v6, v13, v12
	v_div_fmas_f32 v6, v6, v7, v13
	v_div_fixup_f32 v6, v6, v24, -v52
	v_fma_f32 v7, v6, v6, 1.0
	v_mul_f32_e32 v12, 0x4f800000, v7
	v_cmp_gt_f32_e32 vcc, s46, v7
	v_cndmask_b32_e32 v7, v7, v12, vcc
	v_sqrt_f32_e32 v12, v7
	v_add_u32_e32 v13, -1, v12
	v_fma_f32 v14, -v13, v12, v7
	v_cmp_ge_f32_e64 s[10:11], 0, v14
	v_add_u32_e32 v14, 1, v12
	v_cndmask_b32_e64 v13, v12, v13, s[10:11]
	v_fma_f32 v12, -v14, v12, v7
	v_cmp_lt_f32_e64 s[10:11], 0, v12
	v_cndmask_b32_e64 v12, v13, v14, s[10:11]
	v_mul_f32_e32 v13, 0x37800000, v12
	v_cndmask_b32_e32 v12, v12, v13, vcc
	v_cmp_class_f32_e32 vcc, v7, v8
	v_cndmask_b32_e32 v7, v12, v7, vcc
	v_div_scale_f32 v12, s[10:11], v7, v7, 1.0
	v_rcp_f32_e32 v13, v12
	v_fma_f32 v14, -v12, v13, 1.0
	v_fmac_f32_e32 v13, v14, v13
	v_div_scale_f32 v14, vcc, 1.0, v7, 1.0
	v_mul_f32_e32 v15, v14, v13
	v_fma_f32 v18, -v12, v15, v14
	v_fmac_f32_e32 v15, v18, v13
	v_fma_f32 v12, -v12, v15, v14
	v_div_fmas_f32 v12, v12, v13, v15
	v_div_fixup_f32 v53, v12, v7, 1.0
	v_mul_f32_e32 v38, v6, v53
.LBB6_162:                              ;   in Loop: Header=BB6_158 Depth=3
	s_andn2_saveexec_b64 s[42:43], s[42:43]
	s_cbranch_execz .LBB6_164
; %bb.163:                              ;   in Loop: Header=BB6_158 Depth=3
	v_div_scale_f32 v6, s[10:11], v52, v52, -v24
	v_rcp_f32_e32 v7, v6
	v_div_scale_f32 v12, vcc, -v24, v52, -v24
	v_fma_f32 v13, -v6, v7, 1.0
	v_fmac_f32_e32 v7, v13, v7
	v_mul_f32_e32 v13, v12, v7
	v_fma_f32 v14, -v6, v13, v12
	v_fmac_f32_e32 v13, v14, v7
	v_fma_f32 v6, -v6, v13, v12
	v_div_fmas_f32 v6, v6, v7, v13
	v_div_fixup_f32 v6, v6, v52, -v24
	v_fma_f32 v7, v6, v6, 1.0
	v_mul_f32_e32 v12, 0x4f800000, v7
	v_cmp_gt_f32_e32 vcc, s46, v7
	v_cndmask_b32_e32 v7, v7, v12, vcc
	v_sqrt_f32_e32 v12, v7
	v_add_u32_e32 v13, -1, v12
	v_fma_f32 v14, -v13, v12, v7
	v_cmp_ge_f32_e64 s[10:11], 0, v14
	v_add_u32_e32 v14, 1, v12
	v_cndmask_b32_e64 v13, v12, v13, s[10:11]
	v_fma_f32 v12, -v14, v12, v7
	v_cmp_lt_f32_e64 s[10:11], 0, v12
	v_cndmask_b32_e64 v12, v13, v14, s[10:11]
	v_mul_f32_e32 v13, 0x37800000, v12
	v_cndmask_b32_e32 v12, v12, v13, vcc
	v_cmp_class_f32_e32 vcc, v7, v8
	v_cndmask_b32_e32 v7, v12, v7, vcc
	v_div_scale_f32 v12, s[10:11], v7, v7, 1.0
	v_rcp_f32_e32 v13, v12
	v_fma_f32 v14, -v12, v13, 1.0
	v_fmac_f32_e32 v13, v14, v13
	v_div_scale_f32 v14, vcc, 1.0, v7, 1.0
	v_mul_f32_e32 v15, v14, v13
	v_fma_f32 v18, -v12, v15, v14
	v_fmac_f32_e32 v15, v18, v13
	v_fma_f32 v12, -v12, v15, v14
	v_div_fmas_f32 v12, v12, v13, v15
	v_div_fixup_f32 v38, v12, v7, 1.0
	v_mul_f32_e32 v53, v6, v38
.LBB6_164:                              ;   in Loop: Header=BB6_158 Depth=3
	s_or_b64 exec, exec, s[42:43]
	v_mul_f32_e32 v6, v52, v38
	v_fma_f32 v24, v24, v53, -v6
                                        ; implicit-def: $vgpr52
.LBB6_165:                              ;   in Loop: Header=BB6_158 Depth=3
	s_andn2_saveexec_b64 s[10:11], s[40:41]
; %bb.166:                              ;   in Loop: Header=BB6_158 Depth=3
	v_xor_b32_e32 v24, 0x80000000, v52
	v_mov_b32_e32 v38, 1.0
	v_mov_b32_e32 v53, 0
; %bb.167:                              ;   in Loop: Header=BB6_158 Depth=3
	s_or_b64 exec, exec, s[10:11]
.LBB6_168:                              ;   in Loop: Header=BB6_158 Depth=3
	s_or_b64 exec, exec, s[38:39]
	s_cmp_eq_u32 s44, 0
	s_cbranch_scc1 .LBB6_157
; %bb.169:                              ;   in Loop: Header=BB6_158 Depth=3
	flat_store_dword v[48:49], v24
	s_branch .LBB6_157
.LBB6_170:                              ;   in Loop: Header=BB6_132 Depth=2
	s_andn2_b64 s[12:13], s[12:13], exec
	ds_write2_b32 v25, v44, v54 offset0:1 offset1:4
	s_or_b64 exec, exec, s[28:29]
	s_and_saveexec_b64 s[10:11], s[12:13]
	s_cbranch_execnz .LBB6_143
	s_branch .LBB6_144
.LBB6_171:                              ;   in Loop: Header=BB6_132 Depth=2
	s_or_b64 exec, exec, s[36:37]
.LBB6_172:                              ;   in Loop: Header=BB6_132 Depth=2
	s_or_b64 exec, exec, s[34:35]
	ds_read_b32 v38, v25 offset:8
.LBB6_173:                              ;   in Loop: Header=BB6_132 Depth=2
	s_or_b64 exec, exec, s[12:13]
	flat_load_dword v6, v[42:43]
                                        ; implicit-def: $vgpr54
                                        ; implicit-def: $vgpr55
                                        ; implicit-def: $vgpr44
	s_waitcnt vmcnt(0) lgkmcnt(0)
	v_sub_f32_e32 v6, v6, v38
	flat_store_dword v[42:43], v6
	flat_store_dword v[46:47], v24
                                        ; implicit-def: $vgpr42
                                        ; implicit-def: $vgpr46_vgpr47
.LBB6_174:                              ;   in Loop: Header=BB6_132 Depth=2
	s_andn2_saveexec_b64 s[30:31], s[30:31]
	s_cbranch_execz .LBB6_207
; %bb.175:                              ;   in Loop: Header=BB6_132 Depth=2
	v_ashrrev_i32_e32 v45, 31, v44
	v_lshlrev_b64 v[40:41], 2, v[44:45]
	v_add_co_u32_e32 v6, vcc, v9, v40
	v_addc_co_u32_e32 v7, vcc, v4, v41, vcc
	v_add_co_u32_e32 v12, vcc, v5, v40
	v_addc_co_u32_e32 v13, vcc, v62, v41, vcc
	flat_load_dword v38, v[6:7]
	flat_load_dword v50, v[12:13]
                                        ; implicit-def: $vgpr24
	s_waitcnt vmcnt(0) lgkmcnt(0)
	v_sub_f32_e32 v49, v38, v55
	v_add_f32_e32 v48, v50, v50
	v_and_b32_e32 v39, 0x7fffffff, v48
	v_cmp_ngt_f32_e64 s[10:11], |v49|, |v48|
	s_and_saveexec_b64 s[12:13], s[10:11]
	s_xor_b64 s[12:13], exec, s[12:13]
	s_cbranch_execz .LBB6_181
; %bb.176:                              ;   in Loop: Header=BB6_132 Depth=2
	v_cmp_nlt_f32_e64 s[10:11], |v49|, |v48|
                                        ; implicit-def: $vgpr24
	s_and_saveexec_b64 vcc, s[10:11]
	s_xor_b64 s[10:11], exec, vcc
; %bb.177:                              ;   in Loop: Header=BB6_132 Depth=2
	v_cvt_f64_f32_e32 v[6:7], v39
	v_mul_f64 v[6:7], v[6:7], s[20:21]
	v_cvt_f32_f64_e32 v24, v[6:7]
                                        ; implicit-def: $vgpr39
; %bb.178:                              ;   in Loop: Header=BB6_132 Depth=2
	s_andn2_saveexec_b64 s[34:35], s[10:11]
	s_cbranch_execz .LBB6_180
; %bb.179:                              ;   in Loop: Header=BB6_132 Depth=2
	v_and_b32_e32 v6, 0x7fffffff, v49
	v_div_scale_f32 v7, s[10:11], v39, v39, v6
	v_rcp_f32_e32 v12, v7
	v_div_scale_f32 v6, vcc, v6, v39, v6
	v_fma_f32 v13, -v7, v12, 1.0
	v_fmac_f32_e32 v12, v13, v12
	v_mul_f32_e32 v13, v6, v12
	v_fma_f32 v14, -v7, v13, v6
	v_fmac_f32_e32 v13, v14, v12
	v_fma_f32 v6, -v7, v13, v6
	v_div_fmas_f32 v6, v6, v12, v13
	v_div_fixup_f32 v6, v6, |v48|, |v49|
	v_fma_f32 v6, v6, v6, 1.0
	v_mul_f32_e32 v7, 0x4f800000, v6
	v_cmp_gt_f32_e32 vcc, s46, v6
	v_cndmask_b32_e32 v6, v6, v7, vcc
	v_sqrt_f32_e32 v7, v6
	v_add_u32_e32 v12, -1, v7
	v_fma_f32 v13, -v12, v7, v6
	v_cmp_ge_f32_e64 s[10:11], 0, v13
	v_add_u32_e32 v13, 1, v7
	v_cndmask_b32_e64 v12, v7, v12, s[10:11]
	v_fma_f32 v7, -v13, v7, v6
	v_cmp_lt_f32_e64 s[10:11], 0, v7
	v_cndmask_b32_e64 v7, v12, v13, s[10:11]
	v_mul_f32_e32 v12, 0x37800000, v7
	v_cndmask_b32_e32 v7, v7, v12, vcc
	v_cmp_class_f32_e32 vcc, v6, v8
	v_cndmask_b32_e32 v6, v7, v6, vcc
	v_mul_f32_e64 v24, |v48|, v6
.LBB6_180:                              ;   in Loop: Header=BB6_132 Depth=2
	s_or_b64 exec, exec, s[34:35]
                                        ; implicit-def: $vgpr39
.LBB6_181:                              ;   in Loop: Header=BB6_132 Depth=2
	s_andn2_saveexec_b64 s[12:13], s[12:13]
	s_cbranch_execz .LBB6_183
; %bb.182:                              ;   in Loop: Header=BB6_132 Depth=2
	v_and_b32_e32 v6, 0x7fffffff, v49
	v_div_scale_f32 v7, s[10:11], v6, v6, v39
	v_rcp_f32_e32 v12, v7
	v_div_scale_f32 v6, vcc, v39, v6, v39
	v_fma_f32 v13, -v7, v12, 1.0
	v_fmac_f32_e32 v12, v13, v12
	v_mul_f32_e32 v13, v6, v12
	v_fma_f32 v14, -v7, v13, v6
	v_fmac_f32_e32 v13, v14, v12
	v_fma_f32 v6, -v7, v13, v6
	v_div_fmas_f32 v6, v6, v12, v13
	v_div_fixup_f32 v6, v6, |v49|, |v48|
	v_fma_f32 v6, v6, v6, 1.0
	v_mul_f32_e32 v7, 0x4f800000, v6
	v_cmp_gt_f32_e32 vcc, s46, v6
	v_cndmask_b32_e32 v6, v6, v7, vcc
	v_sqrt_f32_e32 v7, v6
	v_add_u32_e32 v12, -1, v7
	v_fma_f32 v13, -v12, v7, v6
	v_cmp_ge_f32_e64 s[10:11], 0, v13
	v_add_u32_e32 v13, 1, v7
	v_cndmask_b32_e64 v12, v7, v12, s[10:11]
	v_fma_f32 v7, -v13, v7, v6
	v_cmp_lt_f32_e64 s[10:11], 0, v7
	v_cndmask_b32_e64 v7, v12, v13, s[10:11]
	v_mul_f32_e32 v12, 0x37800000, v7
	v_cndmask_b32_e32 v7, v7, v12, vcc
	v_cmp_class_f32_e32 vcc, v6, v8
	v_cndmask_b32_e32 v6, v7, v6, vcc
	v_mul_f32_e64 v24, |v49|, v6
.LBB6_183:                              ;   in Loop: Header=BB6_132 Depth=2
	s_or_b64 exec, exec, s[12:13]
	v_add_f32_e32 v52, v38, v55
	v_cmp_gt_f32_e64 vcc, |v38|, |v55|
	v_cndmask_b32_e32 v39, v38, v55, vcc
	v_cndmask_b32_e32 v38, v55, v38, vcc
	v_cmp_ngt_f32_e32 vcc, 0, v52
                                        ; implicit-def: $vgpr51
                                        ; implicit-def: $vgpr44_vgpr45
	s_and_saveexec_b64 s[10:11], vcc
	s_xor_b64 s[10:11], exec, s[10:11]
	s_cbranch_execz .LBB6_189
; %bb.184:                              ;   in Loop: Header=BB6_132 Depth=2
	v_cmp_nlt_f32_e32 vcc, 0, v52
                                        ; implicit-def: $sgpr34
                                        ; implicit-def: $vgpr44_vgpr45
	s_and_saveexec_b64 s[12:13], vcc
	s_xor_b64 s[12:13], exec, s[12:13]
; %bb.185:                              ;   in Loop: Header=BB6_132 Depth=2
	v_pk_mul_f32 v[44:45], v[24:25], s[22:23] op_sel_hi:[0,1]
	s_mov_b32 s34, 1
                                        ; implicit-def: $vgpr52
                                        ; implicit-def: $vgpr38
                                        ; implicit-def: $vgpr39
                                        ; implicit-def: $vgpr50
; %bb.186:                              ;   in Loop: Header=BB6_132 Depth=2
	s_or_saveexec_b64 s[12:13], s[12:13]
	v_mov_b32_e32 v51, s34
	s_xor_b64 exec, exec, s[12:13]
	s_cbranch_execz .LBB6_188
; %bb.187:                              ;   in Loop: Header=BB6_132 Depth=2
	v_add_f32_e32 v6, v52, v24
	v_mul_f32_e32 v44, 0.5, v6
	v_cvt_f64_f32_e32 v[6:7], v38
	v_cvt_f64_f32_e32 v[12:13], v44
	v_div_scale_f64 v[14:15], vcc, v[12:13], v[12:13], v[6:7]
	v_rcp_f64_e32 v[18:19], v[14:15]
	v_accvgpr_mov_b32 a18, a7
	v_fma_f64 v[28:29], -v[14:15], v[18:19], 1.0
	v_fmac_f64_e32 v[18:19], v[18:19], v[28:29]
	v_fma_f64 v[28:29], -v[14:15], v[18:19], 1.0
	v_fmac_f64_e32 v[18:19], v[18:19], v[28:29]
	v_div_scale_f64 v[28:29], vcc, v[6:7], v[12:13], v[6:7]
	v_mul_f64 v[32:33], v[28:29], v[18:19]
	v_fma_f64 v[14:15], -v[14:15], v[32:33], v[28:29]
	v_cvt_f64_f32_e32 v[28:29], v50
	v_div_scale_f64 v[50:51], s[34:35], v[12:13], v[12:13], v[28:29]
	v_rcp_f64_e32 v[52:53], v[50:51]
	v_div_fmas_f64 v[14:15], v[14:15], v[18:19], v[32:33]
	v_div_fixup_f64 v[6:7], v[14:15], v[12:13], v[6:7]
	v_cvt_f64_f32_e32 v[14:15], v39
	v_fma_f64 v[18:19], -v[50:51], v[52:53], 1.0
	v_fmac_f64_e32 v[52:53], v[52:53], v[18:19]
	v_fma_f64 v[18:19], -v[50:51], v[52:53], 1.0
	v_fmac_f64_e32 v[52:53], v[52:53], v[18:19]
	v_div_scale_f64 v[18:19], vcc, v[28:29], v[12:13], v[28:29]
	v_mul_f64 v[32:33], v[18:19], v[52:53]
	v_fma_f64 v[18:19], -v[50:51], v[32:33], v[18:19]
	v_mov_b32_e32 v51, 1
	s_nop 0
	v_div_fmas_f64 v[18:19], v[18:19], v[52:53], v[32:33]
	v_div_fixup_f64 v[12:13], v[18:19], v[12:13], v[28:29]
	v_mul_f64 v[12:13], v[12:13], v[28:29]
	v_fma_f64 v[6:7], v[6:7], v[14:15], -v[12:13]
	v_accvgpr_read_b32 v33, a21
	v_accvgpr_read_b32 v32, a20
	;; [unrolled: 1-line block ×3, first 2 shown]
	v_cvt_f32_f64_e32 v45, v[6:7]
.LBB6_188:                              ;   in Loop: Header=BB6_132 Depth=2
	s_or_b64 exec, exec, s[12:13]
                                        ; implicit-def: $vgpr52
                                        ; implicit-def: $vgpr38
                                        ; implicit-def: $vgpr39
                                        ; implicit-def: $vgpr50
.LBB6_189:                              ;   in Loop: Header=BB6_132 Depth=2
	s_andn2_saveexec_b64 s[10:11], s[10:11]
	s_cbranch_execz .LBB6_191
; %bb.190:                              ;   in Loop: Header=BB6_132 Depth=2
	v_sub_f32_e32 v6, v52, v24
	v_mul_f32_e32 v44, 0.5, v6
	v_cvt_f64_f32_e32 v[6:7], v38
	v_cvt_f64_f32_e32 v[12:13], v44
	v_div_scale_f64 v[14:15], s[12:13], v[12:13], v[12:13], v[6:7]
	v_rcp_f64_e32 v[18:19], v[14:15]
	v_accvgpr_mov_b32 a18, a7
	v_fma_f64 v[28:29], -v[14:15], v[18:19], 1.0
	v_fmac_f64_e32 v[18:19], v[18:19], v[28:29]
	v_fma_f64 v[28:29], -v[14:15], v[18:19], 1.0
	v_fmac_f64_e32 v[18:19], v[18:19], v[28:29]
	v_div_scale_f64 v[28:29], vcc, v[6:7], v[12:13], v[6:7]
	v_mul_f64 v[32:33], v[28:29], v[18:19]
	v_fma_f64 v[14:15], -v[14:15], v[32:33], v[28:29]
	v_cvt_f64_f32_e32 v[28:29], v50
	v_div_scale_f64 v[50:51], s[12:13], v[12:13], v[12:13], v[28:29]
	v_rcp_f64_e32 v[52:53], v[50:51]
	v_div_fmas_f64 v[14:15], v[14:15], v[18:19], v[32:33]
	v_div_fixup_f64 v[6:7], v[14:15], v[12:13], v[6:7]
	v_cvt_f64_f32_e32 v[14:15], v39
	v_fma_f64 v[18:19], -v[50:51], v[52:53], 1.0
	v_fmac_f64_e32 v[52:53], v[52:53], v[18:19]
	v_fma_f64 v[18:19], -v[50:51], v[52:53], 1.0
	v_fmac_f64_e32 v[52:53], v[52:53], v[18:19]
	v_div_scale_f64 v[18:19], vcc, v[28:29], v[12:13], v[28:29]
	v_mul_f64 v[32:33], v[18:19], v[52:53]
	v_fma_f64 v[18:19], -v[50:51], v[32:33], v[18:19]
	v_mov_b32_e32 v51, -1
	s_nop 0
	v_div_fmas_f64 v[18:19], v[18:19], v[52:53], v[32:33]
	v_div_fixup_f64 v[12:13], v[18:19], v[12:13], v[28:29]
	v_mul_f64 v[12:13], v[12:13], v[28:29]
	v_fma_f64 v[6:7], v[6:7], v[14:15], -v[12:13]
	v_accvgpr_read_b32 v33, a21
	v_accvgpr_read_b32 v32, a20
	;; [unrolled: 1-line block ×3, first 2 shown]
	v_cvt_f32_f64_e32 v45, v[6:7]
.LBB6_191:                              ;   in Loop: Header=BB6_132 Depth=2
	s_or_b64 exec, exec, s[10:11]
	v_cmp_nle_f32_e64 s[10:11], 0, v49
	v_cndmask_b32_e64 v6, v24, -v24, s[10:11]
	v_add_f32_e32 v24, v49, v6
	v_cmp_ngt_f32_e64 s[12:13], |v24|, |v48|
                                        ; implicit-def: $vgpr38
                                        ; implicit-def: $vgpr39
	s_and_saveexec_b64 vcc, s[12:13]
	s_xor_b64 s[34:35], exec, vcc
	s_cbranch_execz .LBB6_195
; %bb.192:                              ;   in Loop: Header=BB6_132 Depth=2
	v_cmp_neq_f32_e32 vcc, 0, v48
	v_mov_b32_e32 v38, 0
	v_mov_b32_e32 v39, 1.0
	s_and_saveexec_b64 s[36:37], vcc
	s_cbranch_execz .LBB6_194
; %bb.193:                              ;   in Loop: Header=BB6_132 Depth=2
	v_div_scale_f32 v6, s[12:13], v48, v48, -v24
	v_rcp_f32_e32 v7, v6
	v_div_scale_f32 v12, vcc, -v24, v48, -v24
	v_fma_f32 v13, -v6, v7, 1.0
	v_fmac_f32_e32 v7, v13, v7
	v_mul_f32_e32 v13, v12, v7
	v_fma_f32 v14, -v6, v13, v12
	v_fmac_f32_e32 v13, v14, v7
	v_fma_f32 v6, -v6, v13, v12
	v_div_fmas_f32 v6, v6, v7, v13
	v_div_fixup_f32 v6, v6, v48, -v24
	v_fma_f32 v7, v6, v6, 1.0
	v_mul_f32_e32 v12, 0x4f800000, v7
	v_cmp_gt_f32_e32 vcc, s46, v7
	v_cndmask_b32_e32 v7, v7, v12, vcc
	v_sqrt_f32_e32 v12, v7
	v_add_u32_e32 v13, -1, v12
	v_fma_f32 v14, -v13, v12, v7
	v_cmp_ge_f32_e64 s[12:13], 0, v14
	v_add_u32_e32 v14, 1, v12
	v_cndmask_b32_e64 v13, v12, v13, s[12:13]
	v_fma_f32 v12, -v14, v12, v7
	v_cmp_lt_f32_e64 s[12:13], 0, v12
	v_cndmask_b32_e64 v12, v13, v14, s[12:13]
	v_mul_f32_e32 v13, 0x37800000, v12
	v_cndmask_b32_e32 v12, v12, v13, vcc
	v_cmp_class_f32_e32 vcc, v7, v8
	v_cndmask_b32_e32 v7, v12, v7, vcc
	v_div_scale_f32 v12, s[12:13], v7, v7, 1.0
	v_rcp_f32_e32 v13, v12
	v_fma_f32 v14, -v12, v13, 1.0
	v_fmac_f32_e32 v13, v14, v13
	v_div_scale_f32 v14, vcc, 1.0, v7, 1.0
	v_mul_f32_e32 v15, v14, v13
	v_fma_f32 v18, -v12, v15, v14
	v_fmac_f32_e32 v15, v18, v13
	v_fma_f32 v12, -v12, v15, v14
	v_div_fmas_f32 v12, v12, v13, v15
	v_div_fixup_f32 v39, v12, v7, 1.0
	v_mul_f32_e32 v38, v6, v39
.LBB6_194:                              ;   in Loop: Header=BB6_132 Depth=2
	s_or_b64 exec, exec, s[36:37]
                                        ; implicit-def: $vgpr24
                                        ; implicit-def: $vgpr48
.LBB6_195:                              ;   in Loop: Header=BB6_132 Depth=2
	s_andn2_saveexec_b64 s[34:35], s[34:35]
	s_cbranch_execz .LBB6_197
; %bb.196:                              ;   in Loop: Header=BB6_132 Depth=2
	v_div_scale_f32 v6, s[12:13], v24, v24, -v48
	v_rcp_f32_e32 v7, v6
	v_div_scale_f32 v12, vcc, -v48, v24, -v48
	v_fma_f32 v13, -v6, v7, 1.0
	v_fmac_f32_e32 v7, v13, v7
	v_mul_f32_e32 v13, v12, v7
	v_fma_f32 v14, -v6, v13, v12
	v_fmac_f32_e32 v13, v14, v7
	v_fma_f32 v6, -v6, v13, v12
	v_div_fmas_f32 v6, v6, v7, v13
	v_div_fixup_f32 v6, v6, v24, -v48
	v_fma_f32 v7, v6, v6, 1.0
	v_mul_f32_e32 v12, 0x4f800000, v7
	v_cmp_gt_f32_e32 vcc, s46, v7
	v_cndmask_b32_e32 v7, v7, v12, vcc
	v_sqrt_f32_e32 v12, v7
	v_add_u32_e32 v13, -1, v12
	v_fma_f32 v14, -v13, v12, v7
	v_cmp_ge_f32_e64 s[12:13], 0, v14
	v_add_u32_e32 v14, 1, v12
	v_cndmask_b32_e64 v13, v12, v13, s[12:13]
	v_fma_f32 v12, -v14, v12, v7
	v_cmp_lt_f32_e64 s[12:13], 0, v12
	v_cndmask_b32_e64 v12, v13, v14, s[12:13]
	v_mul_f32_e32 v13, 0x37800000, v12
	v_cndmask_b32_e32 v12, v12, v13, vcc
	v_cmp_class_f32_e32 vcc, v7, v8
	v_cndmask_b32_e32 v7, v12, v7, vcc
	v_div_scale_f32 v12, s[12:13], v7, v7, 1.0
	v_rcp_f32_e32 v13, v12
	v_fma_f32 v14, -v12, v13, 1.0
	v_fmac_f32_e32 v13, v14, v13
	v_div_scale_f32 v14, vcc, 1.0, v7, 1.0
	v_mul_f32_e32 v15, v14, v13
	v_fma_f32 v18, -v12, v15, v14
	v_fmac_f32_e32 v15, v18, v13
	v_fma_f32 v12, -v12, v15, v14
	v_div_fmas_f32 v12, v12, v13, v15
	v_div_fixup_f32 v38, v12, v7, 1.0
	v_mul_f32_e32 v39, v6, v38
.LBB6_197:                              ;   in Loop: Header=BB6_132 Depth=2
	s_or_b64 exec, exec, s[34:35]
	v_cndmask_b32_e64 v6, 1, -1, s[10:11]
	v_cmp_eq_u32_e32 vcc, v51, v6
	v_cndmask_b32_e64 v12, v39, -v38, vcc
	v_cndmask_b32_e32 v13, v38, v39, vcc
	v_add_co_u32_e32 v6, vcc, v60, v40
	v_addc_co_u32_e32 v7, vcc, v33, v41, vcc
	v_accvgpr_read_b32 v14, a28
	flat_store_dword v[6:7], v12
	v_accvgpr_read_b32 v15, a29
	v_add_co_u32_e32 v6, vcc, v6, v14
	v_addc_co_u32_e32 v7, vcc, v7, v15, vcc
	flat_store_dword v[6:7], v13
	v_add_co_u32_e32 v6, vcc, -4, v42
	v_addc_co_u32_e32 v7, vcc, -1, v43, vcc
	flat_store_dwordx2 v[6:7], v[44:45]
	v_add_co_u32_e32 v6, vcc, v61, v46
	v_accvgpr_read_b32 v7, a24
	v_addc_co_u32_e32 v7, vcc, v7, v47, vcc
	flat_store_dword v[6:7], v25
	v_add_u32_e32 v6, -2, v54
	ds_write_b32 v25, v6
	s_or_b64 exec, exec, s[30:31]
                                        ; implicit-def: $vgpr42_vgpr43
                                        ; implicit-def: $vgpr55
                                        ; implicit-def: $vgpr54
.LBB6_198:                              ;   in Loop: Header=BB6_132 Depth=2
	s_andn2_saveexec_b64 s[10:11], s[28:29]
	s_cbranch_execz .LBB6_200
.LBB6_199:                              ;   in Loop: Header=BB6_132 Depth=2
	v_add_u32_e32 v6, -1, v54
	flat_store_dword v[42:43], v55
	ds_write_b32 v25, v6
.LBB6_200:                              ;   in Loop: Header=BB6_132 Depth=2
	s_or_b64 exec, exec, s[10:11]
.LBB6_201:                              ;   in Loop: Header=BB6_132 Depth=2
	s_or_b64 exec, exec, s[26:27]
	s_waitcnt lgkmcnt(0)
	s_barrier
	ds_read_b64 v[50:51], v25
	s_waitcnt lgkmcnt(0)
	v_cmp_eq_u32_e32 vcc, v51, v50
	v_mov_b32_e32 v54, v51
	s_cbranch_vccnz .LBB6_131
; %bb.202:                              ;   in Loop: Header=BB6_132 Depth=2
	s_and_saveexec_b64 s[12:13], s[8:9]
	s_cbranch_execz .LBB6_130
; %bb.203:                              ;   in Loop: Header=BB6_132 Depth=2
	ds_read_b32 v12, v25 offset:16
	v_ashrrev_i32_e32 v7, 31, v51
	v_mov_b32_e32 v6, v51
	v_lshlrev_b64 v[6:7], 2, v[6:7]
	v_add_co_u32_e32 v48, vcc, v60, v6
	v_mul_lo_u32 v6, v51, v20
	v_addc_co_u32_e32 v49, vcc, v33, v7, vcc
	v_ashrrev_i32_e32 v7, 31, v6
	v_lshlrev_b64 v[6:7], 2, v[6:7]
	s_waitcnt lgkmcnt(0)
	v_sub_u32_e32 v24, v12, v51
	v_add_co_u32_e32 v38, vcc, v29, v6
	v_accvgpr_read_b32 v12, a18
	v_addc_co_u32_e32 v39, vcc, v12, v7, vcc
	v_mad_i64_i32 v[12:13], s[26:27], v24, v20, 0
	v_lshlrev_b64 v[12:13], 2, v[12:13]
	v_add_co_u32_e32 v52, vcc, v38, v12
	v_addc_co_u32_e32 v53, vcc, v39, v13, vcc
	v_accvgpr_read_b32 v12, a31
	v_add_co_u32_e32 v50, vcc, v12, v6
	v_accvgpr_read_b32 v6, a32
	v_cmp_lt_i32_e64 s[10:11], 0, v24
	v_addc_co_u32_e32 v51, vcc, v6, v7, vcc
	s_mov_b64 s[26:27], 0
	v_mov_b32_e32 v54, v0
	s_branch .LBB6_205
.LBB6_204:                              ;   in Loop: Header=BB6_205 Depth=3
	v_add_co_u32_e32 v6, vcc, v52, v40
	v_addc_co_u32_e32 v7, vcc, v53, v41, vcc
	v_add_u32_e32 v54, v54, v22
	v_cmp_ge_i32_e32 vcc, v54, v2
	s_or_b64 s[26:27], vcc, s[26:27]
	v_add_co_u32_e32 v50, vcc, v50, v26
	v_addc_co_u32_e32 v51, vcc, v51, v27, vcc
	s_waitcnt vmcnt(0) lgkmcnt(0)
	flat_store_dword v[6:7], v55
	s_andn2_b64 exec, exec, s[26:27]
	s_cbranch_execz .LBB6_130
.LBB6_205:                              ;   Parent Loop BB6_6 Depth=1
                                        ;     Parent Loop BB6_132 Depth=2
                                        ; =>    This Loop Header: Depth=3
                                        ;         Child Loop BB6_206 Depth 4
	v_ashrrev_i32_e32 v55, 31, v54
	v_lshlrev_b64 v[40:41], 2, v[54:55]
	v_add_co_u32_e32 v6, vcc, v38, v40
	v_addc_co_u32_e32 v7, vcc, v39, v41, vcc
	flat_load_dword v55, v[6:7]
	s_andn2_b64 vcc, exec, s[10:11]
	v_pk_mov_b32 v[42:43], v[48:49], v[48:49] op_sel:[0,1]
	v_pk_mov_b32 v[44:45], v[50:51], v[50:51] op_sel:[0,1]
	v_mov_b32_e32 v46, v24
	s_cbranch_vccnz .LBB6_204
.LBB6_206:                              ;   Parent Loop BB6_6 Depth=1
                                        ;     Parent Loop BB6_132 Depth=2
                                        ;       Parent Loop BB6_205 Depth=3
                                        ; =>      This Inner Loop Header: Depth=4
	v_add_co_u32_e32 v6, vcc, v42, v3
	v_addc_co_u32_e32 v7, vcc, v43, v23, vcc
	flat_load_dword v12, v[6:7]
	v_add_co_u32_e32 v6, vcc, v44, v30
	v_addc_co_u32_e32 v7, vcc, v45, v31, vcc
	flat_load_dword v13, v[6:7]
	flat_load_dword v14, v[42:43]
	v_add_co_u32_e32 v42, vcc, 4, v42
	v_add_u32_e32 v46, -1, v46
	v_addc_co_u32_e32 v43, vcc, 0, v43, vcc
	v_cmp_eq_u32_e32 vcc, 0, v46
	s_and_b64 vcc, exec, vcc
	s_waitcnt vmcnt(0) lgkmcnt(0)
	v_mul_f32_e32 v15, v12, v13
	v_mul_f32_e32 v12, v55, v12
	v_fmac_f32_e32 v15, v55, v14
	v_fma_f32 v55, v14, v13, -v12
	flat_store_dword v[44:45], v15
	v_pk_mov_b32 v[44:45], v[6:7], v[6:7] op_sel:[0,1]
	s_cbranch_vccz .LBB6_206
	s_branch .LBB6_204
.LBB6_207:                              ;   in Loop: Header=BB6_132 Depth=2
	s_or_b64 exec, exec, s[30:31]
                                        ; implicit-def: $vgpr42_vgpr43
                                        ; implicit-def: $vgpr55
                                        ; implicit-def: $vgpr54
	s_andn2_saveexec_b64 s[10:11], s[28:29]
	s_cbranch_execnz .LBB6_199
	s_branch .LBB6_200
.LBB6_208:                              ;   in Loop: Header=BB6_6 Depth=1
	s_or_b64 exec, exec, s[24:25]
.LBB6_209:                              ;   in Loop: Header=BB6_6 Depth=1
	s_or_b64 exec, exec, s[14:15]
	v_accvgpr_read_b32 v43, a9
	v_accvgpr_mov_b32 a0, a4
	v_accvgpr_read_b32 v55, a6
	v_accvgpr_read_b32 v42, a8
	v_accvgpr_mov_b32 a1, a5
.LBB6_210:                              ;   in Loop: Header=BB6_6 Depth=1
	s_barrier
	ds_read_b32 v24, v25 offset:24
	s_waitcnt lgkmcnt(0)
	v_cmp_gt_f32_e32 vcc, v24, v58
	s_and_saveexec_b64 s[10:11], vcc
	s_cbranch_execz .LBB6_216
; %bb.211:                              ;   in Loop: Header=BB6_6 Depth=1
	v_div_scale_f32 v6, s[12:13], v24, v24, v58
	v_rcp_f32_e32 v7, v6
	ds_read2_b32 v[48:49], v25 offset0:4 offset1:8
	v_fma_f32 v12, -v6, v7, 1.0
	v_fmac_f32_e32 v7, v12, v7
	v_div_scale_f32 v12, vcc, v58, v24, v58
	v_mul_f32_e32 v13, v12, v7
	v_fma_f32 v14, -v6, v13, v12
	v_fmac_f32_e32 v13, v14, v7
	v_fma_f32 v6, -v6, v13, v12
	v_div_fmas_f32 v6, v6, v7, v13
	v_div_fixup_f32 v24, v6, v24, v58
	s_and_saveexec_b64 s[12:13], s[4:5]
	s_cbranch_execz .LBB6_213
; %bb.212:                              ;   in Loop: Header=BB6_6 Depth=1
	s_waitcnt lgkmcnt(0)
	v_ashrrev_i32_e32 v7, 31, v49
	v_mov_b32_e32 v6, v49
	v_lshlrev_b64 v[6:7], 2, v[6:7]
	v_add_co_u32_e32 v6, vcc, v9, v6
	v_addc_co_u32_e32 v7, vcc, v4, v7, vcc
	flat_load_dword v12, v[6:7]
	s_waitcnt vmcnt(0) lgkmcnt(0)
	v_mul_f32_e32 v12, v24, v12
	flat_store_dword v[6:7], v12
.LBB6_213:                              ;   in Loop: Header=BB6_6 Depth=1
	s_or_b64 exec, exec, s[12:13]
	s_waitcnt lgkmcnt(0)
	v_add_u32_e32 v50, v48, v0
	v_cmp_lt_i32_e32 vcc, v50, v49
	s_and_b64 exec, exec, vcc
	s_cbranch_execz .LBB6_216
; %bb.214:                              ;   in Loop: Header=BB6_6 Depth=1
	v_ashrrev_i32_e32 v51, 31, v50
	v_lshlrev_b64 v[52:53], 2, v[50:51]
	s_mov_b64 s[12:13], 0
.LBB6_215:                              ;   Parent Loop BB6_6 Depth=1
                                        ; =>  This Inner Loop Header: Depth=2
	v_add_co_u32_e32 v6, vcc, v9, v52
	v_addc_co_u32_e32 v7, vcc, v4, v53, vcc
	flat_load_dword v14, v[6:7]
	v_add_co_u32_e32 v12, vcc, v5, v52
	v_addc_co_u32_e32 v13, vcc, v62, v53, vcc
	v_add_co_u32_e32 v52, vcc, v52, v26
	v_add_u32_e32 v50, v50, v22
	v_addc_co_u32_e32 v53, vcc, v53, v27, vcc
	v_cmp_ge_i32_e32 vcc, v50, v49
	s_or_b64 s[12:13], vcc, s[12:13]
	s_waitcnt vmcnt(0) lgkmcnt(0)
	v_mul_f32_e32 v14, v24, v14
	flat_store_dword v[6:7], v14
	flat_load_dword v6, v[12:13]
	s_waitcnt vmcnt(0) lgkmcnt(0)
	v_mul_f32_e32 v6, v24, v6
	flat_store_dword v[12:13], v6
	s_andn2_b64 exec, exec, s[12:13]
	s_cbranch_execnz .LBB6_215
.LBB6_216:                              ;   in Loop: Header=BB6_6 Depth=1
	s_or_b64 exec, exec, s[10:11]
	ds_read_b32 v24, v25 offset:24
	s_waitcnt lgkmcnt(0)
	v_cmp_lt_f32_e32 vcc, v24, v16
	s_and_saveexec_b64 s[10:11], vcc
	s_cbranch_execz .LBB6_4
; %bb.217:                              ;   in Loop: Header=BB6_6 Depth=1
	v_div_scale_f32 v6, s[12:13], v24, v24, v16
	v_rcp_f32_e32 v7, v6
	ds_read2_b32 v[48:49], v25 offset0:4 offset1:8
	v_fma_f32 v12, -v6, v7, 1.0
	v_fmac_f32_e32 v7, v12, v7
	v_div_scale_f32 v12, vcc, v16, v24, v16
	v_mul_f32_e32 v13, v12, v7
	v_fma_f32 v14, -v6, v13, v12
	v_fmac_f32_e32 v13, v14, v7
	v_fma_f32 v6, -v6, v13, v12
	v_div_fmas_f32 v6, v6, v7, v13
	v_div_fixup_f32 v24, v6, v24, v16
	s_and_saveexec_b64 s[12:13], s[4:5]
	s_cbranch_execz .LBB6_219
; %bb.218:                              ;   in Loop: Header=BB6_6 Depth=1
	s_waitcnt lgkmcnt(0)
	v_ashrrev_i32_e32 v7, 31, v49
	v_mov_b32_e32 v6, v49
	v_lshlrev_b64 v[6:7], 2, v[6:7]
	v_add_co_u32_e32 v6, vcc, v9, v6
	v_addc_co_u32_e32 v7, vcc, v4, v7, vcc
	flat_load_dword v12, v[6:7]
	s_waitcnt vmcnt(0) lgkmcnt(0)
	v_mul_f32_e32 v12, v24, v12
	flat_store_dword v[6:7], v12
.LBB6_219:                              ;   in Loop: Header=BB6_6 Depth=1
	s_or_b64 exec, exec, s[12:13]
	s_waitcnt lgkmcnt(0)
	v_add_u32_e32 v50, v48, v0
	v_cmp_lt_i32_e32 vcc, v50, v49
	s_and_b64 exec, exec, vcc
	s_cbranch_execz .LBB6_4
; %bb.220:                              ;   in Loop: Header=BB6_6 Depth=1
	v_ashrrev_i32_e32 v51, 31, v50
	v_lshlrev_b64 v[52:53], 2, v[50:51]
	s_mov_b64 s[12:13], 0
.LBB6_221:                              ;   Parent Loop BB6_6 Depth=1
                                        ; =>  This Inner Loop Header: Depth=2
	v_add_co_u32_e32 v6, vcc, v9, v52
	v_addc_co_u32_e32 v7, vcc, v4, v53, vcc
	flat_load_dword v14, v[6:7]
	v_add_co_u32_e32 v12, vcc, v5, v52
	v_addc_co_u32_e32 v13, vcc, v62, v53, vcc
	v_add_co_u32_e32 v52, vcc, v52, v26
	v_add_u32_e32 v50, v50, v22
	v_addc_co_u32_e32 v53, vcc, v53, v27, vcc
	v_cmp_ge_i32_e32 vcc, v50, v49
	s_or_b64 s[12:13], vcc, s[12:13]
	s_waitcnt vmcnt(0) lgkmcnt(0)
	v_mul_f32_e32 v14, v24, v14
	flat_store_dword v[6:7], v14
	flat_load_dword v6, v[12:13]
	s_waitcnt vmcnt(0) lgkmcnt(0)
	v_mul_f32_e32 v6, v24, v6
	flat_store_dword v[12:13], v6
	s_andn2_b64 exec, exec, s[12:13]
	s_cbranch_execnz .LBB6_221
	s_branch .LBB6_4
.LBB6_222:
	s_or_b64 exec, exec, s[16:17]
; %bb.223:
	v_cmp_gt_i32_e32 vcc, v56, v0
	s_mov_b64 s[8:9], exec
	v_accvgpr_read_b32 v6, a14
	s_and_b64 s[10:11], s[8:9], vcc
	v_accvgpr_read_b32 v7, a15
	s_mov_b64 exec, s[10:11]
	s_cbranch_execz .LBB6_228
; %bb.224:
	v_ashrrev_i32_e32 v1, 31, v0
	v_lshlrev_b64 v[10:11], 2, v[0:1]
	v_add_co_u32_e32 v12, vcc, v5, v10
	v_ashrrev_i32_e32 v23, 31, v22
	v_addc_co_u32_e32 v13, vcc, v62, v11, vcc
	v_lshlrev_b64 v[14:15], 2, v[22:23]
	s_mov_b64 s[10:11], 0
	v_mov_b32_e32 v1, 1
	s_branch .LBB6_226
.LBB6_225:                              ;   in Loop: Header=BB6_226 Depth=1
	s_or_b64 exec, exec, s[12:13]
	v_add_u32_e32 v0, v0, v22
	v_cmp_ge_i32_e32 vcc, v0, v56
	s_or_b64 s[10:11], vcc, s[10:11]
	v_add_co_u32_e32 v12, vcc, v12, v14
	v_addc_co_u32_e32 v13, vcc, v13, v15, vcc
	s_andn2_b64 exec, exec, s[10:11]
	s_cbranch_execz .LBB6_228
.LBB6_226:                              ; =>This Inner Loop Header: Depth=1
	flat_load_dword v3, v[12:13]
	s_waitcnt vmcnt(0) lgkmcnt(0)
	v_cmp_neq_f32_e32 vcc, 0, v3
	s_and_saveexec_b64 s[12:13], vcc
	s_cbranch_execz .LBB6_225
; %bb.227:                              ;   in Loop: Header=BB6_226 Depth=1
	flat_atomic_add v[6:7], v1
	s_branch .LBB6_225
.LBB6_228:
	s_or_b64 exec, exec, s[8:9]
	v_cmp_lt_i32_e32 vcc, 1, v2
	s_mov_b32 s18, 1
	s_and_b64 s[8:9], vcc, s[6:7]
	s_and_saveexec_b64 s[6:7], s[8:9]
	s_cbranch_execz .LBB6_242
; %bb.229:
	v_add_co_u32_e32 v0, vcc, 4, v9
	v_addc_co_u32_e32 v1, vcc, 0, v4, vcc
	s_mov_b64 s[8:9], 0
	v_mov_b32_e32 v3, 0
	s_branch .LBB6_231
.LBB6_230:                              ;   in Loop: Header=BB6_231 Depth=1
	s_add_i32 s18, s18, 1
	v_cmp_eq_u32_e32 vcc, s18, v2
	s_or_b64 s[8:9], vcc, s[8:9]
	v_add_co_u32_e32 v0, vcc, 4, v0
	v_addc_co_u32_e32 v1, vcc, 0, v1, vcc
	s_waitcnt lgkmcnt(0)
	s_barrier
	s_andn2_b64 exec, exec, s[8:9]
	s_cbranch_execz .LBB6_242
.LBB6_231:                              ; =>This Loop Header: Depth=1
                                        ;     Child Loop BB6_234 Depth 2
                                        ;     Child Loop BB6_240 Depth 2
	s_and_saveexec_b64 s[10:11], s[4:5]
	s_cbranch_execz .LBB6_238
; %bb.232:                              ;   in Loop: Header=BB6_231 Depth=1
	s_add_i32 s12, s18, -1
	s_ashr_i32 s13, s12, 31
	s_lshl_b64 s[14:15], s[12:13], 2
	v_mov_b32_e32 v5, s15
	v_add_co_u32_e32 v10, vcc, s14, v9
	v_addc_co_u32_e32 v11, vcc, v4, v5, vcc
	flat_load_dword v5, v[10:11]
	s_mov_b64 s[14:15], 0
	v_pk_mov_b32 v[14:15], v[0:1], v[0:1] op_sel:[0,1]
	v_mov_b32_e32 v12, s12
	v_mov_b32_e32 v13, s12
	s_mov_b32 s13, s18
	ds_write_b64 v3, v[12:13]
	s_waitcnt vmcnt(0) lgkmcnt(0)
	ds_write_b32 v3, v5 offset:8
	s_branch .LBB6_234
.LBB6_233:                              ;   in Loop: Header=BB6_234 Depth=2
	s_or_b64 exec, exec, s[16:17]
	s_add_i32 s13, s13, 1
	v_cmp_ge_i32_e32 vcc, s13, v2
	s_or_b64 s[14:15], vcc, s[14:15]
	v_add_co_u32_e32 v14, vcc, 4, v14
	v_addc_co_u32_e32 v15, vcc, 0, v15, vcc
	s_andn2_b64 exec, exec, s[14:15]
	s_cbranch_execz .LBB6_236
.LBB6_234:                              ;   Parent Loop BB6_231 Depth=1
                                        ; =>  This Inner Loop Header: Depth=2
	flat_load_dword v6, v[14:15]
	s_waitcnt vmcnt(0) lgkmcnt(0)
	v_cmp_lt_f32_e32 vcc, v6, v5
	s_and_saveexec_b64 s[16:17], vcc
	s_cbranch_execz .LBB6_233
; %bb.235:                              ;   in Loop: Header=BB6_234 Depth=2
	v_mov_b32_e32 v5, s13
	v_mov_b32_e32 v12, s13
	ds_write2_b32 v3, v5, v6 offset0:1 offset1:2
	v_mov_b32_e32 v5, v6
	s_branch .LBB6_233
.LBB6_236:                              ;   in Loop: Header=BB6_231 Depth=1
	s_or_b64 exec, exec, s[14:15]
	v_cmp_ne_u32_e32 vcc, s12, v12
	s_and_b64 exec, exec, vcc
	s_cbranch_execz .LBB6_238
; %bb.237:                              ;   in Loop: Header=BB6_231 Depth=1
	flat_load_dword v5, v[10:11]
	v_ashrrev_i32_e32 v13, 31, v12
	v_lshlrev_b64 v[6:7], 2, v[12:13]
	v_add_co_u32_e32 v6, vcc, v9, v6
	v_addc_co_u32_e32 v7, vcc, v4, v7, vcc
	s_waitcnt vmcnt(0) lgkmcnt(0)
	flat_store_dword v[6:7], v5
	ds_read_b32 v5, v3 offset:8
	s_waitcnt lgkmcnt(0)
	flat_store_dword v[10:11], v5
.LBB6_238:                              ;   in Loop: Header=BB6_231 Depth=1
	s_or_b64 exec, exec, s[10:11]
	s_waitcnt lgkmcnt(0)
	s_barrier
	ds_read_b64 v[10:11], v3
	s_waitcnt lgkmcnt(0)
	v_cmp_eq_u32_e32 vcc, v11, v10
	s_cbranch_vccnz .LBB6_230
; %bb.239:                              ;   in Loop: Header=BB6_231 Depth=1
	v_mul_lo_u32 v6, v10, v20
	v_mul_lo_u32 v10, v11, v20
	v_ashrrev_i32_e32 v11, 31, v10
	v_lshlrev_b64 v[10:11], 2, v[10:11]
	v_add_co_u32_e32 v10, vcc, v29, v10
	v_accvgpr_read_b32 v5, a18
	v_ashrrev_i32_e32 v7, 31, v6
	v_addc_co_u32_e32 v11, vcc, v5, v11, vcc
	v_lshlrev_b64 v[6:7], 2, v[6:7]
	v_add_co_u32_e32 v12, vcc, v29, v6
	v_addc_co_u32_e32 v13, vcc, v5, v7, vcc
	s_mov_b64 s[10:11], 0
	v_mov_b32_e32 v5, v2
.LBB6_240:                              ;   Parent Loop BB6_231 Depth=1
                                        ; =>  This Inner Loop Header: Depth=2
	flat_load_dword v6, v[10:11]
	flat_load_dword v7, v[12:13]
	v_add_u32_e32 v5, -1, v5
	v_cmp_eq_u32_e32 vcc, 0, v5
	s_or_b64 s[10:11], vcc, s[10:11]
	s_waitcnt vmcnt(0) lgkmcnt(0)
	flat_store_dword v[12:13], v6
	flat_store_dword v[10:11], v7
	v_add_co_u32_e32 v10, vcc, 4, v10
	v_addc_co_u32_e32 v11, vcc, 0, v11, vcc
	v_add_co_u32_e32 v12, vcc, 4, v12
	v_addc_co_u32_e32 v13, vcc, 0, v13, vcc
	s_andn2_b64 exec, exec, s[10:11]
	s_cbranch_execnz .LBB6_240
; %bb.241:                              ;   in Loop: Header=BB6_231 Depth=1
	s_or_b64 exec, exec, s[10:11]
	s_branch .LBB6_230
.LBB6_242:
	s_or_b64 exec, exec, s[6:7]
	buffer_load_dword a35, off, s[0:3], s32 ; 4-byte Folded Reload
	buffer_load_dword a34, off, s[0:3], s32 offset:4 ; 4-byte Folded Reload
	buffer_load_dword a32, off, s[0:3], s32 offset:8 ; 4-byte Folded Reload
	;; [unrolled: 1-line block ×17, first 2 shown]
	v_readlane_b32 s30, v63, 15
	v_readlane_b32 s31, v63, 16
	;; [unrolled: 1-line block ×17, first 2 shown]
	s_or_saveexec_b64 s[4:5], -1
	buffer_load_dword v63, off, s[0:3], s32 offset:72 ; 4-byte Folded Reload
	s_mov_b64 exec, s[4:5]
	s_waitcnt vmcnt(0) lgkmcnt(0)
	s_setpc_b64 s[30:31]
.Lfunc_end6:
	.size	_ZN9rocsolver6v331009run_steqrIffEEviiiPT0_S3_PT_iPiS3_iS2_S2_S2_b, .Lfunc_end6-_ZN9rocsolver6v331009run_steqrIffEEviiiPT0_S3_PT_iPiS3_iS2_S2_S2_b
                                        ; -- End function
	.section	.AMDGPU.csdata,"",@progbits
; Function info:
; codeLenInByte = 14112
; NumSgprs: 53
; NumVgprs: 64
; NumAgprs: 36
; TotalNumVgprs: 100
; ScratchSize: 80
; MemoryBound: 0
	.section	.text._ZN9rocsolver6v33100L12steqr_kernelIffPfEEviPT0_lS4_lT1_iilPiS4_iS3_S3_S3_,"axG",@progbits,_ZN9rocsolver6v33100L12steqr_kernelIffPfEEviPT0_lS4_lT1_iilPiS4_iS3_S3_S3_,comdat
	.globl	_ZN9rocsolver6v33100L12steqr_kernelIffPfEEviPT0_lS4_lT1_iilPiS4_iS3_S3_S3_ ; -- Begin function _ZN9rocsolver6v33100L12steqr_kernelIffPfEEviPT0_lS4_lT1_iilPiS4_iS3_S3_S3_
	.p2align	8
	.type	_ZN9rocsolver6v33100L12steqr_kernelIffPfEEviPT0_lS4_lT1_iilPiS4_iS3_S3_S3_,@function
_ZN9rocsolver6v33100L12steqr_kernelIffPfEEviPT0_lS4_lT1_iilPiS4_iS3_S3_S3_: ; @_ZN9rocsolver6v33100L12steqr_kernelIffPfEEviPT0_lS4_lT1_iilPiS4_iS3_S3_S3_
; %bb.0:
	s_add_u32 flat_scratch_lo, s6, s10
	s_addc_u32 flat_scratch_hi, s7, 0
	s_add_u32 s0, s0, s10
	s_mov_b32 s6, s9
	s_load_dword s33, s[4:5], 0x0
	s_load_dword s7, s[4:5], 0x60
	;; [unrolled: 1-line block ×3, first 2 shown]
	s_load_dwordx8 s[24:31], s[4:5], 0x8
	s_load_dwordx8 s[12:19], s[4:5], 0x28
	s_load_dwordx2 s[10:11], s[4:5], 0x48
	s_load_dwordx4 s[20:23], s[4:5], 0x50
	s_addc_u32 s1, s1, 0
	s_waitcnt lgkmcnt(0)
	s_and_b32 s9, s9, 0xffff
	s_mul_i32 s8, s8, s9
	v_add_u32_e32 v0, s8, v0
	s_mul_i32 s34, s7, s9
	s_ashr_i32 s7, s6, 31
	s_mul_i32 s8, s6, s27
	s_mul_hi_u32 s9, s6, s26
	s_add_i32 s8, s9, s8
	s_mul_i32 s9, s7, s26
	s_add_i32 s9, s8, s9
	s_mul_i32 s8, s6, s26
	s_lshl_b32 s35, s33, 1
	s_lshl_b64 s[8:9], s[8:9], 2
	s_add_u32 s24, s24, s8
	s_addc_u32 s25, s25, s9
	s_mul_i32 s8, s6, s31
	s_mul_hi_u32 s9, s6, s30
	s_add_i32 s8, s9, s8
	s_mul_i32 s9, s7, s30
	s_add_i32 s9, s8, s9
	s_mul_i32 s8, s6, s30
	s_lshl_b64 s[8:9], s[8:9], 2
	s_add_u32 s26, s28, s8
	s_addc_u32 s27, s29, s9
	s_ashr_i32 s9, s14, 31
	s_mov_b32 s8, s14
	s_mul_i32 s14, s6, s17
	s_mul_hi_u32 s17, s6, s16
	s_add_i32 s14, s17, s14
	s_mul_i32 s17, s7, s16
	s_add_i32 s17, s14, s17
	s_mul_i32 s16, s6, s16
	s_lshl_b64 s[16:17], s[16:17], 2
	s_add_u32 s12, s12, s16
	s_addc_u32 s13, s13, s17
	s_lshl_b64 s[8:9], s[8:9], 2
	s_add_u32 s12, s12, s8
	s_addc_u32 s13, s13, s9
	s_mul_hi_i32 s9, s35, s6
	s_mul_i32 s8, s35, s6
	s_lshl_b64 s[8:9], s[8:9], 2
	s_add_u32 s10, s10, s8
	s_addc_u32 s11, s11, s9
	s_lshl_b64 s[6:7], s[6:7], 2
	s_add_u32 s6, s18, s6
	s_addc_u32 s7, s19, s7
	s_add_u32 s8, s4, 0x60
	s_addc_u32 s9, s5, 0
	v_mov_b32_e32 v1, s34
	v_mov_b32_e32 v2, s33
	;; [unrolled: 1-line block ×18, first 2 shown]
	s_mov_b32 s32, 0
	s_getpc_b64 s[4:5]
	s_add_u32 s4, s4, _ZN9rocsolver6v331009run_steqrIffEEviiiPT0_S3_PT_iPiS3_iS2_S2_S2_b@rel32@lo+4
	s_addc_u32 s5, s5, _ZN9rocsolver6v331009run_steqrIffEEviiiPT0_S3_PT_iPiS3_iS2_S2_S2_b@rel32@hi+12
	s_swappc_b64 s[30:31], s[4:5]
	s_endpgm
	.section	.rodata,"a",@progbits
	.p2align	6, 0x0
	.amdhsa_kernel _ZN9rocsolver6v33100L12steqr_kernelIffPfEEviPT0_lS4_lT1_iilPiS4_iS3_S3_S3_
		.amdhsa_group_segment_fixed_size 36
		.amdhsa_private_segment_fixed_size 80
		.amdhsa_kernarg_size 352
		.amdhsa_user_sgpr_count 8
		.amdhsa_user_sgpr_private_segment_buffer 1
		.amdhsa_user_sgpr_dispatch_ptr 0
		.amdhsa_user_sgpr_queue_ptr 0
		.amdhsa_user_sgpr_kernarg_segment_ptr 1
		.amdhsa_user_sgpr_dispatch_id 0
		.amdhsa_user_sgpr_flat_scratch_init 1
		.amdhsa_user_sgpr_kernarg_preload_length 0
		.amdhsa_user_sgpr_kernarg_preload_offset 0
		.amdhsa_user_sgpr_private_segment_size 0
		.amdhsa_uses_dynamic_stack 0
		.amdhsa_system_sgpr_private_segment_wavefront_offset 1
		.amdhsa_system_sgpr_workgroup_id_x 1
		.amdhsa_system_sgpr_workgroup_id_y 1
		.amdhsa_system_sgpr_workgroup_id_z 0
		.amdhsa_system_sgpr_workgroup_info 0
		.amdhsa_system_vgpr_workitem_id 0
		.amdhsa_next_free_vgpr 100
		.amdhsa_next_free_sgpr 49
		.amdhsa_accum_offset 64
		.amdhsa_reserve_vcc 1
		.amdhsa_reserve_flat_scratch 1
		.amdhsa_float_round_mode_32 0
		.amdhsa_float_round_mode_16_64 0
		.amdhsa_float_denorm_mode_32 3
		.amdhsa_float_denorm_mode_16_64 3
		.amdhsa_dx10_clamp 1
		.amdhsa_ieee_mode 1
		.amdhsa_fp16_overflow 0
		.amdhsa_tg_split 0
		.amdhsa_exception_fp_ieee_invalid_op 0
		.amdhsa_exception_fp_denorm_src 0
		.amdhsa_exception_fp_ieee_div_zero 0
		.amdhsa_exception_fp_ieee_overflow 0
		.amdhsa_exception_fp_ieee_underflow 0
		.amdhsa_exception_fp_ieee_inexact 0
		.amdhsa_exception_int_div_zero 0
	.end_amdhsa_kernel
	.section	.text._ZN9rocsolver6v33100L12steqr_kernelIffPfEEviPT0_lS4_lT1_iilPiS4_iS3_S3_S3_,"axG",@progbits,_ZN9rocsolver6v33100L12steqr_kernelIffPfEEviPT0_lS4_lT1_iilPiS4_iS3_S3_S3_,comdat
.Lfunc_end7:
	.size	_ZN9rocsolver6v33100L12steqr_kernelIffPfEEviPT0_lS4_lT1_iilPiS4_iS3_S3_S3_, .Lfunc_end7-_ZN9rocsolver6v33100L12steqr_kernelIffPfEEviPT0_lS4_lT1_iilPiS4_iS3_S3_S3_
                                        ; -- End function
	.section	.AMDGPU.csdata,"",@progbits
; Kernel info:
; codeLenInByte = 384
; NumSgprs: 55
; NumVgprs: 64
; NumAgprs: 36
; TotalNumVgprs: 100
; ScratchSize: 80
; MemoryBound: 0
; FloatMode: 240
; IeeeMode: 1
; LDSByteSize: 36 bytes/workgroup (compile time only)
; SGPRBlocks: 6
; VGPRBlocks: 12
; NumSGPRsForWavesPerEU: 55
; NumVGPRsForWavesPerEU: 100
; AccumOffset: 64
; Occupancy: 4
; WaveLimiterHint : 0
; COMPUTE_PGM_RSRC2:SCRATCH_EN: 1
; COMPUTE_PGM_RSRC2:USER_SGPR: 8
; COMPUTE_PGM_RSRC2:TRAP_HANDLER: 0
; COMPUTE_PGM_RSRC2:TGID_X_EN: 1
; COMPUTE_PGM_RSRC2:TGID_Y_EN: 1
; COMPUTE_PGM_RSRC2:TGID_Z_EN: 0
; COMPUTE_PGM_RSRC2:TIDIG_COMP_CNT: 0
; COMPUTE_PGM_RSRC3_GFX90A:ACCUM_OFFSET: 15
; COMPUTE_PGM_RSRC3_GFX90A:TG_SPLIT: 0
	.section	.text._ZN9rocsolver6v33100L10init_identIfPfEEviiT0_iil,"axG",@progbits,_ZN9rocsolver6v33100L10init_identIfPfEEviiT0_iil,comdat
	.globl	_ZN9rocsolver6v33100L10init_identIfPfEEviiT0_iil ; -- Begin function _ZN9rocsolver6v33100L10init_identIfPfEEviiT0_iil
	.p2align	8
	.type	_ZN9rocsolver6v33100L10init_identIfPfEEviiT0_iil,@function
_ZN9rocsolver6v33100L10init_identIfPfEEviiT0_iil: ; @_ZN9rocsolver6v33100L10init_identIfPfEEviiT0_iil
; %bb.0:
	s_load_dword s2, s[4:5], 0x2c
	s_load_dwordx2 s[0:1], s[4:5], 0x0
	v_and_b32_e32 v1, 0x3ff, v0
	v_bfe_u32 v0, v0, 10, 10
	s_waitcnt lgkmcnt(0)
	s_lshr_b32 s3, s2, 16
	s_and_b32 s2, s2, 0xffff
	s_mul_i32 s6, s6, s2
	s_mul_i32 s7, s7, s3
	v_add_u32_e32 v2, s6, v1
	v_add_u32_e32 v1, s7, v0
	v_cmp_gt_u32_e32 vcc, s0, v2
	v_cmp_gt_u32_e64 s[0:1], s1, v1
	s_and_b64 s[0:1], vcc, s[0:1]
	s_and_saveexec_b64 s[2:3], s[0:1]
	s_cbranch_execz .LBB8_6
; %bb.1:
	s_load_dwordx2 s[0:1], s[4:5], 0x10
	v_cmp_ne_u32_e32 vcc, v2, v1
                                        ; implicit-def: $sgpr6
                                        ; implicit-def: $vgpr0
	s_and_saveexec_b64 s[2:3], vcc
	s_xor_b64 s[2:3], exec, s[2:3]
	s_cbranch_execz .LBB8_3
; %bb.2:
	s_waitcnt lgkmcnt(0)
	v_mad_u64_u32 v[0:1], s[6:7], v1, s1, v[2:3]
	s_mov_b32 s6, 0
                                        ; implicit-def: $vgpr2
.LBB8_3:
	s_or_saveexec_b64 s[2:3], s[2:3]
	v_mov_b32_e32 v3, s6
	s_xor_b64 exec, exec, s[2:3]
	s_cbranch_execz .LBB8_5
; %bb.4:
	s_waitcnt lgkmcnt(0)
	v_mad_u64_u32 v[0:1], s[6:7], v2, s1, v[2:3]
	v_mov_b32_e32 v3, 1.0
.LBB8_5:
	s_or_b64 exec, exec, s[2:3]
	s_load_dwordx2 s[2:3], s[4:5], 0x18
	s_load_dwordx2 s[6:7], s[4:5], 0x8
	s_waitcnt lgkmcnt(0)
	s_ashr_i32 s1, s0, 31
	v_mov_b32_e32 v1, 0
	v_lshlrev_b64 v[0:1], 2, v[0:1]
	s_mul_i32 s3, s8, s3
	s_mul_hi_u32 s4, s8, s2
	s_mul_i32 s2, s8, s2
	s_add_i32 s3, s4, s3
	s_lshl_b64 s[2:3], s[2:3], 2
	s_add_u32 s2, s6, s2
	s_addc_u32 s3, s7, s3
	s_lshl_b64 s[0:1], s[0:1], 2
	s_add_u32 s0, s2, s0
	s_addc_u32 s1, s3, s1
	v_mov_b32_e32 v2, s1
	v_add_co_u32_e32 v0, vcc, s0, v0
	v_addc_co_u32_e32 v1, vcc, v2, v1, vcc
	global_store_dword v[0:1], v3, off
.LBB8_6:
	s_endpgm
	.section	.rodata,"a",@progbits
	.p2align	6, 0x0
	.amdhsa_kernel _ZN9rocsolver6v33100L10init_identIfPfEEviiT0_iil
		.amdhsa_group_segment_fixed_size 0
		.amdhsa_private_segment_fixed_size 0
		.amdhsa_kernarg_size 288
		.amdhsa_user_sgpr_count 6
		.amdhsa_user_sgpr_private_segment_buffer 1
		.amdhsa_user_sgpr_dispatch_ptr 0
		.amdhsa_user_sgpr_queue_ptr 0
		.amdhsa_user_sgpr_kernarg_segment_ptr 1
		.amdhsa_user_sgpr_dispatch_id 0
		.amdhsa_user_sgpr_flat_scratch_init 0
		.amdhsa_user_sgpr_kernarg_preload_length 0
		.amdhsa_user_sgpr_kernarg_preload_offset 0
		.amdhsa_user_sgpr_private_segment_size 0
		.amdhsa_uses_dynamic_stack 0
		.amdhsa_system_sgpr_private_segment_wavefront_offset 0
		.amdhsa_system_sgpr_workgroup_id_x 1
		.amdhsa_system_sgpr_workgroup_id_y 1
		.amdhsa_system_sgpr_workgroup_id_z 1
		.amdhsa_system_sgpr_workgroup_info 0
		.amdhsa_system_vgpr_workitem_id 1
		.amdhsa_next_free_vgpr 4
		.amdhsa_next_free_sgpr 9
		.amdhsa_accum_offset 4
		.amdhsa_reserve_vcc 1
		.amdhsa_reserve_flat_scratch 0
		.amdhsa_float_round_mode_32 0
		.amdhsa_float_round_mode_16_64 0
		.amdhsa_float_denorm_mode_32 3
		.amdhsa_float_denorm_mode_16_64 3
		.amdhsa_dx10_clamp 1
		.amdhsa_ieee_mode 1
		.amdhsa_fp16_overflow 0
		.amdhsa_tg_split 0
		.amdhsa_exception_fp_ieee_invalid_op 0
		.amdhsa_exception_fp_denorm_src 0
		.amdhsa_exception_fp_ieee_div_zero 0
		.amdhsa_exception_fp_ieee_overflow 0
		.amdhsa_exception_fp_ieee_underflow 0
		.amdhsa_exception_fp_ieee_inexact 0
		.amdhsa_exception_int_div_zero 0
	.end_amdhsa_kernel
	.section	.text._ZN9rocsolver6v33100L10init_identIfPfEEviiT0_iil,"axG",@progbits,_ZN9rocsolver6v33100L10init_identIfPfEEviiT0_iil,comdat
.Lfunc_end8:
	.size	_ZN9rocsolver6v33100L10init_identIfPfEEviiT0_iil, .Lfunc_end8-_ZN9rocsolver6v33100L10init_identIfPfEEviiT0_iil
                                        ; -- End function
	.section	.AMDGPU.csdata,"",@progbits
; Kernel info:
; codeLenInByte = 264
; NumSgprs: 13
; NumVgprs: 4
; NumAgprs: 0
; TotalNumVgprs: 4
; ScratchSize: 0
; MemoryBound: 0
; FloatMode: 240
; IeeeMode: 1
; LDSByteSize: 0 bytes/workgroup (compile time only)
; SGPRBlocks: 1
; VGPRBlocks: 0
; NumSGPRsForWavesPerEU: 13
; NumVGPRsForWavesPerEU: 4
; AccumOffset: 4
; Occupancy: 8
; WaveLimiterHint : 0
; COMPUTE_PGM_RSRC2:SCRATCH_EN: 0
; COMPUTE_PGM_RSRC2:USER_SGPR: 6
; COMPUTE_PGM_RSRC2:TRAP_HANDLER: 0
; COMPUTE_PGM_RSRC2:TGID_X_EN: 1
; COMPUTE_PGM_RSRC2:TGID_Y_EN: 1
; COMPUTE_PGM_RSRC2:TGID_Z_EN: 1
; COMPUTE_PGM_RSRC2:TIDIG_COMP_CNT: 1
; COMPUTE_PGM_RSRC3_GFX90A:ACCUM_OFFSET: 0
; COMPUTE_PGM_RSRC3_GFX90A:TG_SPLIT: 0
	.section	.text._ZN9rocsolver6v33100L19stedc_divide_kernelIfEEviiiPT_lS3_liPi,"axG",@progbits,_ZN9rocsolver6v33100L19stedc_divide_kernelIfEEviiiPT_lS3_liPi,comdat
	.globl	_ZN9rocsolver6v33100L19stedc_divide_kernelIfEEviiiPT_lS3_liPi ; -- Begin function _ZN9rocsolver6v33100L19stedc_divide_kernelIfEEviiiPT_lS3_liPi
	.p2align	8
	.type	_ZN9rocsolver6v33100L19stedc_divide_kernelIfEEviiiPT_lS3_liPi,@function
_ZN9rocsolver6v33100L19stedc_divide_kernelIfEEviiiPT_lS3_liPi: ; @_ZN9rocsolver6v33100L19stedc_divide_kernelIfEEviiiPT_lS3_liPi
; %bb.0:
	s_load_dword s0, s[4:5], 0x4c
	s_load_dword s1, s[4:5], 0x30
	s_waitcnt lgkmcnt(0)
	s_and_b32 s0, s0, 0xffff
	s_mul_i32 s6, s6, s0
	v_add_u32_e32 v4, s6, v0
	v_cmp_gt_i32_e32 vcc, s1, v4
	s_and_saveexec_b64 s[0:1], vcc
	s_cbranch_execz .LBB9_10
; %bb.1:
	s_load_dwordx4 s[8:11], s[4:5], 0x0
	s_load_dwordx2 s[2:3], s[4:5], 0x38
	s_waitcnt lgkmcnt(0)
	s_mul_i32 s0, s10, 13
	v_mul_lo_u32 v0, s0, v4
	v_ashrrev_i32_e32 v1, 31, v0
	v_lshlrev_b64 v[2:3], 2, v[0:1]
	v_mov_b32_e32 v5, s3
	v_add_co_u32_e32 v0, vcc, s2, v2
	v_addc_co_u32_e64 v1, s[0:1], v5, v3, vcc
	v_mov_b32_e32 v2, s10
	s_cmp_lt_i32 s8, 1
	global_store_dword v[0:1], v2, off
	s_cbranch_scc1 .LBB9_7
; %bb.2:
	v_mov_b32_e32 v2, s3
	v_addc_co_u32_e32 v2, vcc, v3, v2, vcc
	v_add_co_u32_e32 v5, vcc, -4, v0
	v_addc_co_u32_e32 v6, vcc, -1, v2, vcc
	s_mov_b32 s1, 0
	s_mov_b32 s2, 0
	s_branch .LBB9_4
.LBB9_3:                                ;   in Loop: Header=BB9_4 Depth=1
	s_add_i32 s2, s2, 1
	s_cmp_eq_u32 s2, s8
	s_cbranch_scc1 .LBB9_7
.LBB9_4:                                ; =>This Loop Header: Depth=1
                                        ;     Child Loop BB9_6 Depth 2
	s_cmp_eq_u32 s2, 31
	s_cbranch_scc1 .LBB9_3
; %bb.5:                                ;   in Loop: Header=BB9_4 Depth=1
	s_lshl_b32 s0, 1, s2
	s_lshl_b64 s[6:7], s[0:1], 2
	v_mov_b32_e32 v3, s7
	v_add_co_u32_e32 v2, vcc, s6, v5
	s_add_i32 s3, s0, 1
	v_addc_co_u32_e32 v3, vcc, v6, v3, vcc
	s_lshl_b32 s0, s0, 1
.LBB9_6:                                ;   Parent Loop BB9_4 Depth=1
                                        ; =>  This Inner Loop Header: Depth=2
	global_load_dword v7, v[2:3], off
	v_add_co_u32_e32 v2, vcc, -4, v2
	s_lshl_b64 s[6:7], s[0:1], 2
	v_addc_co_u32_e32 v3, vcc, -1, v3, vcc
	s_add_i32 s3, s3, -1
	s_add_i32 s0, s0, -2
	v_mov_b32_e32 v9, s7
	v_add_co_u32_e32 v8, vcc, s6, v0
	s_cmp_lt_i32 s3, 2
	v_addc_co_u32_e32 v9, vcc, v1, v9, vcc
	s_waitcnt vmcnt(0)
	v_lshrrev_b32_e32 v10, 31, v7
	v_and_b32_e32 v11, 1, v7
	v_add_u32_e32 v7, v7, v10
	v_ashrrev_i32_e32 v10, 1, v7
	v_add_u32_e32 v11, v10, v11
	global_store_dwordx2 v[8:9], v[10:11], off offset:-8
	s_cbranch_scc0 .LBB9_6
	s_branch .LBB9_3
.LBB9_7:
	s_ashr_i32 s11, s10, 31
	s_lshl_b64 s[0:1], s[10:11], 2
	v_mov_b32_e32 v2, s1
	v_add_co_u32_e32 v6, vcc, s0, v0
	v_addc_co_u32_e32 v7, vcc, v1, v2, vcc
	v_mov_b32_e32 v2, 0
	s_cmp_lt_i32 s9, 2
	global_store_dword v[6:7], v2, off
	s_cbranch_scc1 .LBB9_10
; %bb.8:
	s_load_dwordx8 s[12:19], s[4:5], 0x10
	v_ashrrev_i32_e32 v3, 31, v4
	s_waitcnt lgkmcnt(0)
	v_mul_lo_u32 v5, v4, s15
	v_mul_lo_u32 v8, v3, s14
	v_mad_u64_u32 v[6:7], s[2:3], v4, s14, 0
	v_add3_u32 v7, v7, v5, v8
	v_lshlrev_b64 v[6:7], 2, v[6:7]
	v_mov_b32_e32 v8, s13
	v_add_co_u32_e32 v5, vcc, s12, v6
	v_addc_co_u32_e32 v6, vcc, v8, v7, vcc
	v_mul_lo_u32 v7, v4, s19
	v_mul_lo_u32 v3, v3, s18
	v_mad_u64_u32 v[8:9], s[2:3], v4, s18, 0
	v_add3_u32 v9, v9, v7, v3
	v_lshlrev_b64 v[8:9], 2, v[8:9]
	v_mov_b32_e32 v3, s17
	v_add_co_u32_e32 v4, vcc, s16, v8
	s_add_i32 s2, s9, -1
	v_addc_co_u32_e32 v3, vcc, v3, v9, vcc
	s_add_u32 s0, s0, 4
	v_add_co_u32_e32 v4, vcc, -4, v4
	s_addc_u32 s1, s1, 0
	v_addc_co_u32_e32 v7, vcc, -1, v3, vcc
	v_mov_b32_e32 v8, s1
.LBB9_9:                                ; =>This Inner Loop Header: Depth=1
	global_load_dword v3, v[0:1], off
	s_add_i32 s2, s2, -1
	s_cmp_lg_u32 s2, 0
	s_waitcnt vmcnt(0)
	v_add_u32_e32 v2, v3, v2
	v_ashrrev_i32_e32 v3, 31, v2
	v_lshlrev_b64 v[10:11], 2, v[2:3]
	v_add_co_u32_e32 v12, vcc, v4, v10
	v_addc_co_u32_e32 v13, vcc, v7, v11, vcc
	v_add_co_u32_e32 v10, vcc, v5, v10
	v_addc_co_u32_e32 v11, vcc, v6, v11, vcc
	global_load_dword v3, v[12:13], off
	global_load_dwordx2 v[14:15], v[10:11], off offset:-4
	v_add_co_u32_e32 v12, vcc, s0, v0
	v_addc_co_u32_e32 v13, vcc, v1, v8, vcc
	v_add_co_u32_e32 v0, vcc, 4, v0
	v_addc_co_u32_e32 v1, vcc, 0, v1, vcc
	global_store_dword v[12:13], v2, off
	s_waitcnt vmcnt(1)
	v_sub_f32_e32 v13, v15, v3
	v_sub_f32_e32 v12, v14, v3
	global_store_dwordx2 v[10:11], v[12:13], off offset:-4
	s_cbranch_scc1 .LBB9_9
.LBB9_10:
	s_endpgm
	.section	.rodata,"a",@progbits
	.p2align	6, 0x0
	.amdhsa_kernel _ZN9rocsolver6v33100L19stedc_divide_kernelIfEEviiiPT_lS3_liPi
		.amdhsa_group_segment_fixed_size 0
		.amdhsa_private_segment_fixed_size 0
		.amdhsa_kernarg_size 320
		.amdhsa_user_sgpr_count 6
		.amdhsa_user_sgpr_private_segment_buffer 1
		.amdhsa_user_sgpr_dispatch_ptr 0
		.amdhsa_user_sgpr_queue_ptr 0
		.amdhsa_user_sgpr_kernarg_segment_ptr 1
		.amdhsa_user_sgpr_dispatch_id 0
		.amdhsa_user_sgpr_flat_scratch_init 0
		.amdhsa_user_sgpr_kernarg_preload_length 0
		.amdhsa_user_sgpr_kernarg_preload_offset 0
		.amdhsa_user_sgpr_private_segment_size 0
		.amdhsa_uses_dynamic_stack 0
		.amdhsa_system_sgpr_private_segment_wavefront_offset 0
		.amdhsa_system_sgpr_workgroup_id_x 1
		.amdhsa_system_sgpr_workgroup_id_y 0
		.amdhsa_system_sgpr_workgroup_id_z 0
		.amdhsa_system_sgpr_workgroup_info 0
		.amdhsa_system_vgpr_workitem_id 0
		.amdhsa_next_free_vgpr 16
		.amdhsa_next_free_sgpr 20
		.amdhsa_accum_offset 16
		.amdhsa_reserve_vcc 1
		.amdhsa_reserve_flat_scratch 0
		.amdhsa_float_round_mode_32 0
		.amdhsa_float_round_mode_16_64 0
		.amdhsa_float_denorm_mode_32 3
		.amdhsa_float_denorm_mode_16_64 3
		.amdhsa_dx10_clamp 1
		.amdhsa_ieee_mode 1
		.amdhsa_fp16_overflow 0
		.amdhsa_tg_split 0
		.amdhsa_exception_fp_ieee_invalid_op 0
		.amdhsa_exception_fp_denorm_src 0
		.amdhsa_exception_fp_ieee_div_zero 0
		.amdhsa_exception_fp_ieee_overflow 0
		.amdhsa_exception_fp_ieee_underflow 0
		.amdhsa_exception_fp_ieee_inexact 0
		.amdhsa_exception_int_div_zero 0
	.end_amdhsa_kernel
	.section	.text._ZN9rocsolver6v33100L19stedc_divide_kernelIfEEviiiPT_lS3_liPi,"axG",@progbits,_ZN9rocsolver6v33100L19stedc_divide_kernelIfEEviiiPT_lS3_liPi,comdat
.Lfunc_end9:
	.size	_ZN9rocsolver6v33100L19stedc_divide_kernelIfEEviiiPT_lS3_liPi, .Lfunc_end9-_ZN9rocsolver6v33100L19stedc_divide_kernelIfEEviiiPT_lS3_liPi
                                        ; -- End function
	.section	.AMDGPU.csdata,"",@progbits
; Kernel info:
; codeLenInByte = 592
; NumSgprs: 24
; NumVgprs: 16
; NumAgprs: 0
; TotalNumVgprs: 16
; ScratchSize: 0
; MemoryBound: 0
; FloatMode: 240
; IeeeMode: 1
; LDSByteSize: 0 bytes/workgroup (compile time only)
; SGPRBlocks: 2
; VGPRBlocks: 1
; NumSGPRsForWavesPerEU: 24
; NumVGPRsForWavesPerEU: 16
; AccumOffset: 16
; Occupancy: 8
; WaveLimiterHint : 1
; COMPUTE_PGM_RSRC2:SCRATCH_EN: 0
; COMPUTE_PGM_RSRC2:USER_SGPR: 6
; COMPUTE_PGM_RSRC2:TRAP_HANDLER: 0
; COMPUTE_PGM_RSRC2:TGID_X_EN: 1
; COMPUTE_PGM_RSRC2:TGID_Y_EN: 0
; COMPUTE_PGM_RSRC2:TGID_Z_EN: 0
; COMPUTE_PGM_RSRC2:TIDIG_COMP_CNT: 0
; COMPUTE_PGM_RSRC3_GFX90A:ACCUM_OFFSET: 3
; COMPUTE_PGM_RSRC3_GFX90A:TG_SPLIT: 0
	.section	.text._ZN9rocsolver6v33100L18stedc_solve_kernelIfEEviiPT_lS3_lS3_iilPiS3_S4_S2_S2_S2_,"axG",@progbits,_ZN9rocsolver6v33100L18stedc_solve_kernelIfEEviiPT_lS3_lS3_iilPiS3_S4_S2_S2_S2_,comdat
	.globl	_ZN9rocsolver6v33100L18stedc_solve_kernelIfEEviiPT_lS3_lS3_iilPiS3_S4_S2_S2_S2_ ; -- Begin function _ZN9rocsolver6v33100L18stedc_solve_kernelIfEEviiPT_lS3_lS3_iilPiS3_S4_S2_S2_S2_
	.p2align	8
	.type	_ZN9rocsolver6v33100L18stedc_solve_kernelIfEEviiPT_lS3_lS3_iilPiS3_S4_S2_S2_S2_,@function
_ZN9rocsolver6v33100L18stedc_solve_kernelIfEEviiPT_lS3_lS3_iilPiS3_S4_S2_S2_S2_: ; @_ZN9rocsolver6v33100L18stedc_solve_kernelIfEEviiPT_lS3_lS3_iilPiS3_S4_S2_S2_S2_
; %bb.0:
	s_add_u32 flat_scratch_lo, s6, s10
	s_addc_u32 flat_scratch_hi, s7, 0
	s_add_u32 s0, s0, s10
	s_load_dword s10, s[4:5], 0x4
	s_load_dword s7, s[4:5], 0x74
	s_load_dwordx4 s[28:31], s[4:5], 0x28
	s_load_dwordx8 s[20:27], s[4:5], 0x8
	s_load_dwordx8 s[12:19], s[4:5], 0x38
	s_mov_b32 s6, s9
	s_addc_u32 s1, s1, 0
	s_waitcnt lgkmcnt(0)
	s_and_b32 s33, s7, 0xffff
	s_ashr_i32 s7, s9, 31
	s_mul_i32 s9, s9, s13
	s_mul_hi_u32 s13, s6, s12
	s_add_i32 s9, s13, s9
	s_mul_i32 s13, s7, s12
	s_add_i32 s13, s9, s13
	s_mul_i32 s12, s6, s12
	s_ashr_i32 s11, s10, 31
	s_ashr_i32 s35, s30, 31
	s_lshl_b64 s[12:13], s[12:13], 2
	s_mov_b32 s34, s30
	s_add_u32 s9, s28, s12
	s_addc_u32 s28, s29, s13
	s_lshl_b64 s[12:13], s[34:35], 2
	s_add_u32 s29, s9, s12
	s_mul_i32 s9, s6, s23
	s_mul_hi_u32 s12, s6, s22
	s_addc_u32 s28, s28, s13
	s_add_i32 s9, s12, s9
	s_mul_i32 s12, s7, s22
	s_add_i32 s13, s9, s12
	s_mul_i32 s12, s6, s22
	s_lshl_b64 s[12:13], s[12:13], 2
	s_add_u32 s20, s20, s12
	s_mul_i32 s9, s6, s27
	s_mul_hi_u32 s12, s6, s26
	s_addc_u32 s21, s21, s13
	s_add_i32 s9, s12, s9
	s_mul_i32 s12, s7, s26
	s_add_i32 s13, s9, s12
	s_mul_i32 s12, s6, s26
	s_lshl_b64 s[12:13], s[12:13], 2
	s_add_u32 s22, s24, s12
	s_addc_u32 s23, s25, s13
	s_lshl_b64 s[12:13], s[6:7], 2
	s_mul_i32 s9, s6, s10
	s_add_u32 s24, s14, s12
	s_mul_i32 s6, s9, 13
	s_addc_u32 s25, s15, s13
	s_ashr_i32 s7, s6, 31
	s_lshl_b64 s[6:7], s[6:7], 2
	s_add_u32 s12, s18, s6
	s_addc_u32 s13, s19, s7
	s_lshl_b64 s[6:7], s[10:11], 2
	s_lshl_b32 s10, s9, 1
	s_ashr_i32 s11, s10, 31
	s_lshl_b64 s[10:11], s[10:11], 2
	s_add_u32 s16, s16, s10
	s_addc_u32 s17, s17, s11
	s_ashr_i32 s9, s8, 31
	s_lshl_b64 s[8:9], s[8:9], 2
	s_add_u32 s8, s12, s8
	s_addc_u32 s9, s13, s9
	s_add_u32 s6, s8, s6
	s_addc_u32 s7, s9, s7
	s_load_dword s10, s[6:7], 0x0
	s_load_dwordx4 s[12:15], s[4:5], 0x58
                                        ; kill: killed $sgpr6 killed $sgpr7
	s_waitcnt lgkmcnt(0)
	s_load_dword s15, s[8:9], 0x0
                                        ; kill: killed $sgpr8 killed $sgpr9
	v_mov_b32_e32 v1, s33
	v_mov_b32_e32 v9, s31
	s_ashr_i32 s11, s10, 31
	s_lshl_b64 s[6:7], s[10:11], 2
	s_add_u32 s11, s20, s6
	s_addc_u32 s18, s21, s7
	s_add_u32 s19, s22, s6
	s_addc_u32 s20, s23, s7
	s_add_u32 s8, s29, s6
	s_mul_i32 s6, s10, s31
	s_addc_u32 s9, s28, s7
	s_ashr_i32 s7, s6, 31
	s_lshl_b64 s[6:7], s[6:7], 2
	s_add_u32 s21, s8, s6
	s_addc_u32 s22, s9, s7
	s_lshl_b32 s6, s10, 1
	s_ashr_i32 s7, s6, 31
	s_lshl_b64 s[6:7], s[6:7], 2
	s_add_u32 s6, s16, s6
	s_addc_u32 s7, s17, s7
	s_waitcnt lgkmcnt(0)
	s_mul_i32 s10, s15, 30
	s_add_u32 s8, s4, 0x68
	s_addc_u32 s9, s5, 0
	v_mov_b32_e32 v2, s15
	v_mov_b32_e32 v3, s11
	;; [unrolled: 1-line block ×16, first 2 shown]
	s_mov_b32 s32, 0
	s_getpc_b64 s[4:5]
	s_add_u32 s4, s4, _ZN9rocsolver6v331009run_steqrIffEEviiiPT0_S3_PT_iPiS3_iS2_S2_S2_b@rel32@lo+4
	s_addc_u32 s5, s5, _ZN9rocsolver6v331009run_steqrIffEEviiiPT0_S3_PT_iPiS3_iS2_S2_S2_b@rel32@hi+12
	s_swappc_b64 s[30:31], s[4:5]
	s_endpgm
	.section	.rodata,"a",@progbits
	.p2align	6, 0x0
	.amdhsa_kernel _ZN9rocsolver6v33100L18stedc_solve_kernelIfEEviiPT_lS3_lS3_iilPiS3_S4_S2_S2_S2_
		.amdhsa_group_segment_fixed_size 36
		.amdhsa_private_segment_fixed_size 80
		.amdhsa_kernarg_size 360
		.amdhsa_user_sgpr_count 8
		.amdhsa_user_sgpr_private_segment_buffer 1
		.amdhsa_user_sgpr_dispatch_ptr 0
		.amdhsa_user_sgpr_queue_ptr 0
		.amdhsa_user_sgpr_kernarg_segment_ptr 1
		.amdhsa_user_sgpr_dispatch_id 0
		.amdhsa_user_sgpr_flat_scratch_init 1
		.amdhsa_user_sgpr_kernarg_preload_length 0
		.amdhsa_user_sgpr_kernarg_preload_offset 0
		.amdhsa_user_sgpr_private_segment_size 0
		.amdhsa_uses_dynamic_stack 0
		.amdhsa_system_sgpr_private_segment_wavefront_offset 1
		.amdhsa_system_sgpr_workgroup_id_x 1
		.amdhsa_system_sgpr_workgroup_id_y 1
		.amdhsa_system_sgpr_workgroup_id_z 0
		.amdhsa_system_sgpr_workgroup_info 0
		.amdhsa_system_vgpr_workitem_id 0
		.amdhsa_next_free_vgpr 100
		.amdhsa_next_free_sgpr 49
		.amdhsa_accum_offset 64
		.amdhsa_reserve_vcc 1
		.amdhsa_reserve_flat_scratch 1
		.amdhsa_float_round_mode_32 0
		.amdhsa_float_round_mode_16_64 0
		.amdhsa_float_denorm_mode_32 3
		.amdhsa_float_denorm_mode_16_64 3
		.amdhsa_dx10_clamp 1
		.amdhsa_ieee_mode 1
		.amdhsa_fp16_overflow 0
		.amdhsa_tg_split 0
		.amdhsa_exception_fp_ieee_invalid_op 0
		.amdhsa_exception_fp_denorm_src 0
		.amdhsa_exception_fp_ieee_div_zero 0
		.amdhsa_exception_fp_ieee_overflow 0
		.amdhsa_exception_fp_ieee_underflow 0
		.amdhsa_exception_fp_ieee_inexact 0
		.amdhsa_exception_int_div_zero 0
	.end_amdhsa_kernel
	.section	.text._ZN9rocsolver6v33100L18stedc_solve_kernelIfEEviiPT_lS3_lS3_iilPiS3_S4_S2_S2_S2_,"axG",@progbits,_ZN9rocsolver6v33100L18stedc_solve_kernelIfEEviiPT_lS3_lS3_iilPiS3_S4_S2_S2_S2_,comdat
.Lfunc_end10:
	.size	_ZN9rocsolver6v33100L18stedc_solve_kernelIfEEviiPT_lS3_lS3_iilPiS3_S4_S2_S2_S2_, .Lfunc_end10-_ZN9rocsolver6v33100L18stedc_solve_kernelIfEEviiPT_lS3_lS3_iilPiS3_S4_S2_S2_S2_
                                        ; -- End function
	.section	.AMDGPU.csdata,"",@progbits
; Kernel info:
; codeLenInByte = 516
; NumSgprs: 55
; NumVgprs: 64
; NumAgprs: 36
; TotalNumVgprs: 100
; ScratchSize: 80
; MemoryBound: 0
; FloatMode: 240
; IeeeMode: 1
; LDSByteSize: 36 bytes/workgroup (compile time only)
; SGPRBlocks: 6
; VGPRBlocks: 12
; NumSGPRsForWavesPerEU: 55
; NumVGPRsForWavesPerEU: 100
; AccumOffset: 64
; Occupancy: 4
; WaveLimiterHint : 0
; COMPUTE_PGM_RSRC2:SCRATCH_EN: 1
; COMPUTE_PGM_RSRC2:USER_SGPR: 8
; COMPUTE_PGM_RSRC2:TRAP_HANDLER: 0
; COMPUTE_PGM_RSRC2:TGID_X_EN: 1
; COMPUTE_PGM_RSRC2:TGID_Y_EN: 1
; COMPUTE_PGM_RSRC2:TGID_Z_EN: 0
; COMPUTE_PGM_RSRC2:TIDIG_COMP_CNT: 0
; COMPUTE_PGM_RSRC3_GFX90A:ACCUM_OFFSET: 15
; COMPUTE_PGM_RSRC3_GFX90A:TG_SPLIT: 0
	.section	.text._ZN9rocsolver6v33100L37stedc_mergePrepare_DeflateZero_kernelIfEEviiPT_lS3_lS3_iilS3_PiS2_,"axG",@progbits,_ZN9rocsolver6v33100L37stedc_mergePrepare_DeflateZero_kernelIfEEviiPT_lS3_lS3_iilS3_PiS2_,comdat
	.globl	_ZN9rocsolver6v33100L37stedc_mergePrepare_DeflateZero_kernelIfEEviiPT_lS3_lS3_iilS3_PiS2_ ; -- Begin function _ZN9rocsolver6v33100L37stedc_mergePrepare_DeflateZero_kernelIfEEviiPT_lS3_lS3_iilS3_PiS2_
	.p2align	8
	.type	_ZN9rocsolver6v33100L37stedc_mergePrepare_DeflateZero_kernelIfEEviiPT_lS3_lS3_iilS3_PiS2_,@function
_ZN9rocsolver6v33100L37stedc_mergePrepare_DeflateZero_kernelIfEEviiPT_lS3_lS3_iilS3_PiS2_: ; @_ZN9rocsolver6v33100L37stedc_mergePrepare_DeflateZero_kernelIfEEviiPT_lS3_lS3_iilS3_PiS2_
; %bb.0:
	s_load_dword s20, s[4:5], 0x4
	s_load_dwordx8 s[8:15], s[4:5], 0x8
	s_load_dwordx4 s[16:19], s[4:5], 0x38
	s_ashr_i32 s36, s7, 31
	s_load_dwordx2 s[0:1], s[4:5], 0x48
	s_waitcnt lgkmcnt(0)
	s_ashr_i32 s21, s20, 31
	s_mul_i32 s2, s7, s15
	s_mul_hi_u32 s3, s7, s14
	s_add_i32 s2, s3, s2
	s_mul_i32 s3, s36, s14
	s_add_i32 s3, s2, s3
	s_mul_i32 s2, s7, s14
	s_lshl_b64 s[2:3], s[2:3], 2
	s_add_u32 s22, s12, s2
	s_mul_i32 s12, s7, s20
	s_mul_i32 s2, s12, 13
	s_addc_u32 s23, s13, s3
	s_ashr_i32 s3, s2, 31
	s_lshl_b64 s[2:3], s[2:3], 2
	s_add_u32 s2, s0, s2
	s_addc_u32 s3, s1, s3
	s_lshl_b32 s0, s20, 3
	s_ashr_i32 s1, s0, 31
	s_lshl_b64 s[0:1], s[0:1], 2
	s_add_u32 s30, s2, s0
	s_addc_u32 s31, s3, s1
	s_mul_i32 s1, s20, 0xffffffe8
	s_mul_hi_i32 s0, s20, 0xffffffe8
	s_add_u32 s2, s30, s1
	s_addc_u32 s3, s31, s0
	s_mul_i32 s0, s12, 10
	s_ashr_i32 s1, s0, 31
	s_lshl_b64 s[14:15], s[20:21], 2
	s_lshl_b64 s[0:1], s[0:1], 2
	s_add_u32 s21, s18, s0
	s_mul_i32 s0, s20, 9
	s_addc_u32 s33, s19, s1
	s_ashr_i32 s1, s0, 31
	s_lshl_b64 s[0:1], s[0:1], 2
	s_add_u32 s34, s21, s0
	s_addc_u32 s35, s33, s1
	s_lshl_b32 s0, s6, 1
	s_ashr_i32 s1, s0, 31
	s_lshl_b64 s[0:1], s[0:1], 2
	s_add_u32 s0, s2, s0
	s_addc_u32 s1, s3, s1
	s_add_u32 s2, s0, s14
	s_addc_u32 s3, s1, s15
	s_load_dwordx2 s[12:13], s[2:3], 0x0
	s_waitcnt lgkmcnt(0)
	s_ashr_i32 s19, s13, 31
	s_mov_b32 s18, s13
	s_lshl_b64 s[2:3], s[18:19], 2
	s_add_u32 s2, s22, s2
	s_addc_u32 s3, s23, s3
	s_add_u32 s2, s2, -4
	s_addc_u32 s3, s3, -1
	s_load_dword s6, s[2:3], 0x0
	s_load_dwordx2 s[22:23], s[0:1], 0x0
	s_load_dwordx2 s[26:27], s[4:5], 0x28
	s_waitcnt lgkmcnt(0)
	v_add_f32_e64 v1, s6, s6
	s_add_i32 s13, s23, s22
	v_cmp_le_i32_e64 s[2:3], s13, v0
	v_cmp_gt_i32_e64 s[0:1], s13, v0
	s_and_saveexec_b64 s[24:25], s[0:1]
	s_cbranch_execz .LBB11_3
; %bb.1:
	s_load_dword s6, s[4:5], 0x64
	s_mov_b64 s[28:29], 0
	v_mov_b32_e32 v2, s35
	v_mov_b32_e32 v3, v0
	s_waitcnt lgkmcnt(0)
	s_and_b32 s6, s6, 0xffff
.LBB11_2:                               ; =>This Inner Loop Header: Depth=1
	v_add_u32_e32 v4, s12, v3
	v_add_u32_e32 v3, s6, v3
	v_ashrrev_i32_e32 v5, 31, v4
	v_cmp_le_i32_e32 vcc, s13, v3
	v_lshlrev_b64 v[4:5], 2, v[4:5]
	s_or_b64 s[28:29], vcc, s[28:29]
	v_add_co_u32_e32 v4, vcc, s34, v4
	v_addc_co_u32_e32 v5, vcc, v2, v5, vcc
	global_store_dword v[4:5], v1, off
	s_andn2_b64 exec, exec, s[28:29]
	s_cbranch_execnz .LBB11_2
.LBB11_3:
	s_or_b64 exec, exec, s[24:25]
	s_load_dwordx2 s[24:25], s[4:5], 0x30
	s_mul_i32 s6, s7, s17
	s_mul_hi_u32 s17, s7, s16
	s_add_i32 s6, s17, s6
	s_mul_i32 s17, s36, s16
	s_add_i32 s17, s6, s17
	s_mul_i32 s16, s7, s16
	s_waitcnt lgkmcnt(0)
	s_ashr_i32 s29, s24, 31
	s_lshl_b64 s[16:17], s[16:17], 2
	s_mov_b32 s28, s24
	s_add_u32 s6, s26, s16
	s_addc_u32 s24, s27, s17
	s_lshl_b64 s[16:17], s[28:29], 2
	s_add_u32 s6, s6, s16
	s_addc_u32 s37, s24, s17
	v_cmp_gt_i32_e32 vcc, s22, v0
	v_mov_b32_e32 v4, 0
	s_and_saveexec_b64 s[16:17], vcc
	s_cbranch_execz .LBB11_7
; %bb.4:
	s_load_dword s24, s[4:5], 0x64
	v_add_u32_e32 v2, s12, v0
	s_mov_b64 s[26:27], 0
	v_mul_lo_u32 v2, s25, v2
	v_mov_b32_e32 v4, 0
	s_waitcnt lgkmcnt(0)
	s_and_b32 s24, s24, 0xffff
	s_add_u32 s38, s6, -4
	s_addc_u32 s28, s37, -1
	v_mov_b32_e32 v5, s28
	s_mov_b32 s28, 0x667f3bcd
	s_mul_i32 s39, s25, s24
	v_mov_b32_e32 v3, s19
	s_mov_b32 s29, 0x3ff6a09e
	v_mov_b32_e32 v6, s33
	v_mov_b32_e32 v7, v0
.LBB11_5:                               ; =>This Inner Loop Header: Depth=1
	v_ashrrev_i32_e32 v9, 31, v2
	v_add_co_u32_e32 v8, vcc, s18, v2
	v_addc_co_u32_e32 v9, vcc, v9, v3, vcc
	v_lshlrev_b64 v[8:9], 2, v[8:9]
	v_add_co_u32_e32 v8, vcc, s38, v8
	v_addc_co_u32_e32 v9, vcc, v5, v9, vcc
	global_load_dword v10, v[8:9], off
	v_add_u32_e32 v8, s12, v7
	v_add_u32_e32 v7, s24, v7
	v_ashrrev_i32_e32 v9, 31, v8
	v_cmp_le_i32_e32 vcc, s22, v7
	v_lshlrev_b64 v[8:9], 2, v[8:9]
	s_or_b64 s[26:27], vcc, s[26:27]
	v_add_co_u32_e32 v8, vcc, s21, v8
	v_addc_co_u32_e32 v9, vcc, v6, v9, vcc
	v_add_u32_e32 v2, s39, v2
	s_waitcnt vmcnt(0)
	v_cvt_f64_f32_e32 v[10:11], v10
	v_div_scale_f64 v[12:13], s[40:41], s[28:29], s[28:29], v[10:11]
	v_rcp_f64_e32 v[16:17], v[12:13]
	v_div_scale_f64 v[14:15], vcc, v[10:11], s[28:29], v[10:11]
	v_fma_f64 v[18:19], -v[12:13], v[16:17], 1.0
	v_fmac_f64_e32 v[16:17], v[16:17], v[18:19]
	v_fma_f64 v[18:19], -v[12:13], v[16:17], 1.0
	v_fmac_f64_e32 v[16:17], v[16:17], v[18:19]
	v_mul_f64 v[18:19], v[14:15], v[16:17]
	v_fma_f64 v[12:13], -v[12:13], v[18:19], v[14:15]
	v_div_fmas_f64 v[12:13], v[12:13], v[16:17], v[18:19]
	v_div_fixup_f64 v[10:11], v[12:13], s[28:29], v[10:11]
	v_cvt_f32_f64_e32 v10, v[10:11]
	v_cmp_lt_f32_e64 s[40:41], v4, |v10|
	v_cndmask_b32_e64 v4, v4, |v10|, s[40:41]
	global_store_dword v[8:9], v10, off
	s_andn2_b64 exec, exec, s[26:27]
	s_cbranch_execnz .LBB11_5
; %bb.6:
	s_or_b64 exec, exec, s[26:27]
.LBB11_7:
	s_or_b64 exec, exec, s[16:17]
	v_cmp_le_i32_e32 vcc, s23, v0
                                        ; implicit-def: $sgpr26_sgpr27
	s_and_saveexec_b64 s[16:17], vcc
	s_xor_b64 s[16:17], exec, s[16:17]
	s_cbranch_execz .LBB11_11
; %bb.8:
	s_add_u32 s26, s4, 0x58
	s_addc_u32 s27, s5, 0
	s_or_saveexec_b64 s[16:17], s[16:17]
	v_pk_mov_b32 v[2:3], s[26:27], s[26:27] op_sel:[0,1]
	s_xor_b64 exec, exec, s[16:17]
	s_cbranch_execnz .LBB11_12
.LBB11_9:
	s_or_b64 exec, exec, s[16:17]
                                        ; implicit-def: $sgpr6
                                        ; implicit-def: $vgpr7
                                        ; implicit-def: $vgpr5
	s_and_saveexec_b64 s[16:17], s[2:3]
	s_xor_b64 s[2:3], exec, s[16:17]
	s_cbranch_execz .LBB11_15
.LBB11_10:
	global_load_ushort v7, v[2:3], off offset:12
	s_mov_b32 s6, 0
                                        ; implicit-def: $vgpr2_vgpr3
	s_waitcnt vmcnt(0)
	v_and_b32_e32 v5, 0xffff, v7
	s_or_saveexec_b64 s[2:3], s[2:3]
	v_mov_b32_e32 v6, s6
	s_xor_b64 exec, exec, s[2:3]
	s_cbranch_execz .LBB11_19
	s_branch .LBB11_16
.LBB11_11:
	s_or_saveexec_b64 s[16:17], s[16:17]
	v_pk_mov_b32 v[2:3], s[26:27], s[26:27] op_sel:[0,1]
	s_xor_b64 exec, exec, s[16:17]
	s_cbranch_execz .LBB11_9
.LBB11_12:
	s_load_dword s19, s[4:5], 0x64
	s_add_u32 s26, s4, 0x58
	v_add_u32_e32 v2, s18, v0
	s_addc_u32 s27, s5, 0
	s_mov_b32 s28, 0x667f3bcd
	s_waitcnt lgkmcnt(0)
	s_and_b32 s19, s19, 0xffff
	v_mul_lo_u32 v2, s25, v2
	s_mul_i32 s22, s25, s19
	s_mov_b64 s[24:25], 0
	v_mov_b32_e32 v3, s37
	s_mov_b32 s29, 0x3ff6a09e
	v_mov_b32_e32 v5, s33
	v_mov_b32_e32 v6, v0
.LBB11_13:                              ; =>This Inner Loop Header: Depth=1
	v_add_u32_e32 v8, s18, v2
	v_ashrrev_i32_e32 v9, 31, v8
	v_lshlrev_b64 v[8:9], 2, v[8:9]
	v_add_co_u32_e32 v8, vcc, s6, v8
	v_addc_co_u32_e32 v9, vcc, v3, v9, vcc
	global_load_dword v7, v[8:9], off
	v_add_u32_e32 v8, s18, v6
	v_add_u32_e32 v6, s19, v6
	v_ashrrev_i32_e32 v9, 31, v8
	v_cmp_le_i32_e32 vcc, s23, v6
	v_lshlrev_b64 v[8:9], 2, v[8:9]
	s_or_b64 s[24:25], vcc, s[24:25]
	v_add_co_u32_e32 v8, vcc, s21, v8
	v_addc_co_u32_e32 v9, vcc, v5, v9, vcc
	v_add_u32_e32 v2, s22, v2
	s_waitcnt vmcnt(0)
	v_cvt_f64_f32_e32 v[10:11], v7
	v_div_scale_f64 v[12:13], s[38:39], s[28:29], s[28:29], v[10:11]
	v_rcp_f64_e32 v[16:17], v[12:13]
	v_div_scale_f64 v[14:15], vcc, v[10:11], s[28:29], v[10:11]
	v_fma_f64 v[18:19], -v[12:13], v[16:17], 1.0
	v_fmac_f64_e32 v[16:17], v[16:17], v[18:19]
	v_fma_f64 v[18:19], -v[12:13], v[16:17], 1.0
	v_fmac_f64_e32 v[16:17], v[16:17], v[18:19]
	v_mul_f64 v[18:19], v[14:15], v[16:17]
	v_fma_f64 v[12:13], -v[12:13], v[18:19], v[14:15]
	v_div_fmas_f64 v[12:13], v[12:13], v[16:17], v[18:19]
	v_div_fixup_f64 v[10:11], v[12:13], s[28:29], v[10:11]
	v_cvt_f32_f64_e32 v7, v[10:11]
	v_cmp_lt_f32_e64 s[38:39], v4, |v7|
	v_cndmask_b32_e64 v4, v4, |v7|, s[38:39]
	global_store_dword v[8:9], v7, off
	s_andn2_b64 exec, exec, s[24:25]
	s_cbranch_execnz .LBB11_13
; %bb.14:
	s_or_b64 exec, exec, s[24:25]
	v_pk_mov_b32 v[2:3], s[26:27], s[26:27] op_sel:[0,1]
	s_or_b64 exec, exec, s[16:17]
                                        ; implicit-def: $sgpr6
                                        ; implicit-def: $vgpr7
                                        ; implicit-def: $vgpr5
	s_and_saveexec_b64 s[16:17], s[2:3]
	s_xor_b64 s[2:3], exec, s[16:17]
	s_cbranch_execnz .LBB11_10
.LBB11_15:
	s_or_saveexec_b64 s[2:3], s[2:3]
	v_mov_b32_e32 v6, s6
	s_xor_b64 exec, exec, s[2:3]
	s_cbranch_execz .LBB11_19
.LBB11_16:
	global_load_ushort v7, v[2:3], off offset:12
	s_mul_i32 s11, s7, s11
	s_mul_hi_u32 s16, s7, s10
	s_mul_i32 s17, s36, s10
	s_add_i32 s11, s16, s11
	s_mul_i32 s10, s7, s10
	s_add_i32 s11, s11, s17
	s_lshl_b64 s[10:11], s[10:11], 2
	s_add_u32 s8, s8, s10
	s_addc_u32 s9, s9, s11
	s_mov_b64 s[6:7], 0
	v_mov_b32_e32 v6, 0
	v_mov_b32_e32 v2, s9
	;; [unrolled: 1-line block ×3, first 2 shown]
	s_waitcnt vmcnt(0)
	v_and_b32_e32 v5, 0xffff, v7
.LBB11_17:                              ; =>This Inner Loop Header: Depth=1
	v_add_u32_e32 v8, s12, v3
	v_ashrrev_i32_e32 v9, 31, v8
	v_lshlrev_b64 v[8:9], 2, v[8:9]
	v_add_co_u32_e32 v8, vcc, s8, v8
	v_addc_co_u32_e32 v9, vcc, v2, v9, vcc
	global_load_dword v8, v[8:9], off
	v_add_u32_e32 v3, v3, v5
	v_cmp_le_i32_e32 vcc, s13, v3
	s_or_b64 s[6:7], vcc, s[6:7]
	s_waitcnt vmcnt(0)
	v_cmp_lt_f32_e64 s[10:11], v6, |v8|
	v_cndmask_b32_e64 v6, v6, |v8|, s[10:11]
	s_andn2_b64 exec, exec, s[6:7]
	s_cbranch_execnz .LBB11_17
; %bb.18:
	s_or_b64 exec, exec, s[6:7]
.LBB11_19:
	s_or_b64 exec, exec, s[2:3]
	v_lshlrev_b32_e32 v2, 2, v0
	v_cmp_lt_u16_e32 vcc, 1, v7
	ds_write2st64_b32 v2, v6, v4 offset1:8
	s_waitcnt lgkmcnt(0)
	s_barrier
	s_and_saveexec_b64 s[2:3], vcc
	s_cbranch_execz .LBB11_24
; %bb.20:
	v_or_b32_e32 v3, 0x800, v2
	s_mov_b64 s[6:7], 0
	v_mov_b32_e32 v7, v5
	s_branch .LBB11_22
.LBB11_21:                              ;   in Loop: Header=BB11_22 Depth=1
	s_or_b64 exec, exec, s[8:9]
	v_cmp_gt_u32_e32 vcc, 4, v7
	s_or_b64 s[6:7], vcc, s[6:7]
	v_mov_b32_e32 v7, v8
	s_waitcnt lgkmcnt(0)
	s_barrier
	s_andn2_b64 exec, exec, s[6:7]
	s_cbranch_execz .LBB11_24
.LBB11_22:                              ; =>This Inner Loop Header: Depth=1
	v_lshrrev_b32_e32 v8, 1, v7
	v_cmp_lt_u32_e32 vcc, v0, v8
	s_and_saveexec_b64 s[8:9], vcc
	s_cbranch_execz .LBB11_21
; %bb.23:                               ;   in Loop: Header=BB11_22 Depth=1
	v_lshlrev_b32_e32 v9, 2, v8
	v_add_u32_e32 v10, v2, v9
	ds_read_b32 v10, v10
	v_add_u32_e32 v9, v3, v9
	ds_read_b32 v9, v9
	s_waitcnt lgkmcnt(1)
	v_cmp_lt_f32_e32 vcc, v6, v10
	v_cndmask_b32_e32 v6, v6, v10, vcc
	s_waitcnt lgkmcnt(0)
	v_cmp_lt_f32_e32 vcc, v4, v9
	v_cndmask_b32_e32 v4, v4, v9, vcc
	ds_write_b32 v2, v6
	ds_write_b32 v3, v4
	s_branch .LBB11_21
.LBB11_24:
	s_or_b64 exec, exec, s[2:3]
	s_and_saveexec_b64 s[2:3], s[0:1]
	s_cbranch_execz .LBB11_29
; %bb.25:
	s_load_dword s0, s[4:5], 0x50
	v_mov_b32_e32 v2, 0
	ds_read2st64_b32 v[2:3], v2 offset1:8
	v_mov_b32_e32 v4, 0x41000000
	s_mul_i32 s1, s20, 0xffffffec
	s_waitcnt lgkmcnt(0)
	v_mul_f32_e32 v4, s0, v4
	s_mul_hi_i32 s0, s20, 0xffffffec
	s_add_u32 s2, s34, s1
	s_addc_u32 s4, s35, s0
	v_cmp_lt_f32_e32 vcc, v2, v3
	s_add_u32 s3, s2, s14
	v_cndmask_b32_e32 v2, v2, v3, vcc
	s_addc_u32 s5, s4, s15
	v_mul_f32_e32 v2, v4, v2
	s_mov_b64 s[0:1], 0
	v_mov_b32_e32 v3, s4
	v_mov_b32_e32 v4, s5
	;; [unrolled: 1-line block ×3, first 2 shown]
.LBB11_26:                              ; =>This Inner Loop Header: Depth=1
	v_add_u32_e32 v8, s12, v6
	v_add_u32_e32 v6, v6, v5
	v_ashrrev_i32_e32 v9, 31, v8
	v_cmp_le_i32_e32 vcc, s13, v6
	v_lshlrev_b64 v[8:9], 2, v[8:9]
	s_or_b64 s[0:1], vcc, s[0:1]
	v_add_co_u32_e32 v10, vcc, s2, v8
	v_addc_co_u32_e32 v11, vcc, v3, v9, vcc
	v_add_co_u32_e32 v8, vcc, s3, v8
	v_addc_co_u32_e32 v9, vcc, v4, v9, vcc
	global_store_dword v[10:11], v2, off
	global_store_dword v[8:9], v2, off
	s_andn2_b64 exec, exec, s[0:1]
	s_cbranch_execnz .LBB11_26
; %bb.27:
	s_or_b64 exec, exec, s[0:1]
	s_mov_b64 s[0:1], 0
	v_mov_b32_e32 v3, s33
	v_mov_b32_e32 v4, s31
.LBB11_28:                              ; =>This Inner Loop Header: Depth=1
	v_add_u32_e32 v6, s12, v0
	v_ashrrev_i32_e32 v7, 31, v6
	v_lshlrev_b64 v[6:7], 2, v[6:7]
	v_add_co_u32_e32 v8, vcc, s21, v6
	v_addc_co_u32_e32 v9, vcc, v3, v7, vcc
	global_load_dword v8, v[8:9], off
	v_add_u32_e32 v0, v0, v5
	v_cmp_le_i32_e32 vcc, s13, v0
	s_or_b64 s[0:1], vcc, s[0:1]
	v_add_co_u32_e32 v6, vcc, s30, v6
	v_addc_co_u32_e32 v7, vcc, v4, v7, vcc
	s_waitcnt vmcnt(0)
	v_mul_f32_e32 v8, v1, v8
	v_cmp_nle_f32_e64 s[2:3], |v8|, v2
	v_cndmask_b32_e64 v8, 0, 1, s[2:3]
	global_store_dword v[6:7], v8, off
	s_andn2_b64 exec, exec, s[0:1]
	s_cbranch_execnz .LBB11_28
.LBB11_29:
	s_endpgm
	.section	.rodata,"a",@progbits
	.p2align	6, 0x0
	.amdhsa_kernel _ZN9rocsolver6v33100L37stedc_mergePrepare_DeflateZero_kernelIfEEviiPT_lS3_lS3_iilS3_PiS2_
		.amdhsa_group_segment_fixed_size 4096
		.amdhsa_private_segment_fixed_size 0
		.amdhsa_kernarg_size 344
		.amdhsa_user_sgpr_count 6
		.amdhsa_user_sgpr_private_segment_buffer 1
		.amdhsa_user_sgpr_dispatch_ptr 0
		.amdhsa_user_sgpr_queue_ptr 0
		.amdhsa_user_sgpr_kernarg_segment_ptr 1
		.amdhsa_user_sgpr_dispatch_id 0
		.amdhsa_user_sgpr_flat_scratch_init 0
		.amdhsa_user_sgpr_kernarg_preload_length 0
		.amdhsa_user_sgpr_kernarg_preload_offset 0
		.amdhsa_user_sgpr_private_segment_size 0
		.amdhsa_uses_dynamic_stack 0
		.amdhsa_system_sgpr_private_segment_wavefront_offset 0
		.amdhsa_system_sgpr_workgroup_id_x 1
		.amdhsa_system_sgpr_workgroup_id_y 1
		.amdhsa_system_sgpr_workgroup_id_z 0
		.amdhsa_system_sgpr_workgroup_info 0
		.amdhsa_system_vgpr_workitem_id 0
		.amdhsa_next_free_vgpr 20
		.amdhsa_next_free_sgpr 42
		.amdhsa_accum_offset 20
		.amdhsa_reserve_vcc 1
		.amdhsa_reserve_flat_scratch 0
		.amdhsa_float_round_mode_32 0
		.amdhsa_float_round_mode_16_64 0
		.amdhsa_float_denorm_mode_32 3
		.amdhsa_float_denorm_mode_16_64 3
		.amdhsa_dx10_clamp 1
		.amdhsa_ieee_mode 1
		.amdhsa_fp16_overflow 0
		.amdhsa_tg_split 0
		.amdhsa_exception_fp_ieee_invalid_op 0
		.amdhsa_exception_fp_denorm_src 0
		.amdhsa_exception_fp_ieee_div_zero 0
		.amdhsa_exception_fp_ieee_overflow 0
		.amdhsa_exception_fp_ieee_underflow 0
		.amdhsa_exception_fp_ieee_inexact 0
		.amdhsa_exception_int_div_zero 0
	.end_amdhsa_kernel
	.section	.text._ZN9rocsolver6v33100L37stedc_mergePrepare_DeflateZero_kernelIfEEviiPT_lS3_lS3_iilS3_PiS2_,"axG",@progbits,_ZN9rocsolver6v33100L37stedc_mergePrepare_DeflateZero_kernelIfEEviiPT_lS3_lS3_iilS3_PiS2_,comdat
.Lfunc_end11:
	.size	_ZN9rocsolver6v33100L37stedc_mergePrepare_DeflateZero_kernelIfEEviiPT_lS3_lS3_iilS3_PiS2_, .Lfunc_end11-_ZN9rocsolver6v33100L37stedc_mergePrepare_DeflateZero_kernelIfEEviiPT_lS3_lS3_iilS3_PiS2_
                                        ; -- End function
	.section	.AMDGPU.csdata,"",@progbits
; Kernel info:
; codeLenInByte = 1840
; NumSgprs: 46
; NumVgprs: 20
; NumAgprs: 0
; TotalNumVgprs: 20
; ScratchSize: 0
; MemoryBound: 0
; FloatMode: 240
; IeeeMode: 1
; LDSByteSize: 4096 bytes/workgroup (compile time only)
; SGPRBlocks: 5
; VGPRBlocks: 2
; NumSGPRsForWavesPerEU: 46
; NumVGPRsForWavesPerEU: 20
; AccumOffset: 20
; Occupancy: 8
; WaveLimiterHint : 1
; COMPUTE_PGM_RSRC2:SCRATCH_EN: 0
; COMPUTE_PGM_RSRC2:USER_SGPR: 6
; COMPUTE_PGM_RSRC2:TRAP_HANDLER: 0
; COMPUTE_PGM_RSRC2:TGID_X_EN: 1
; COMPUTE_PGM_RSRC2:TGID_Y_EN: 1
; COMPUTE_PGM_RSRC2:TGID_Z_EN: 0
; COMPUTE_PGM_RSRC2:TIDIG_COMP_CNT: 0
; COMPUTE_PGM_RSRC3_GFX90A:ACCUM_OFFSET: 4
; COMPUTE_PGM_RSRC3_GFX90A:TG_SPLIT: 0
	.section	.text._ZN9rocsolver6v33100L31stedc_mergePrepare_SortD_kernelIfEEviiPT_lS3_Pi,"axG",@progbits,_ZN9rocsolver6v33100L31stedc_mergePrepare_SortD_kernelIfEEviiPT_lS3_Pi,comdat
	.globl	_ZN9rocsolver6v33100L31stedc_mergePrepare_SortD_kernelIfEEviiPT_lS3_Pi ; -- Begin function _ZN9rocsolver6v33100L31stedc_mergePrepare_SortD_kernelIfEEviiPT_lS3_Pi
	.p2align	8
	.type	_ZN9rocsolver6v33100L31stedc_mergePrepare_SortD_kernelIfEEviiPT_lS3_Pi,@function
_ZN9rocsolver6v33100L31stedc_mergePrepare_SortD_kernelIfEEviiPT_lS3_Pi: ; @_ZN9rocsolver6v33100L31stedc_mergePrepare_SortD_kernelIfEEviiPT_lS3_Pi
; %bb.0:
	s_load_dword s24, s[4:5], 0x4
	s_load_dwordx8 s[16:23], s[4:5], 0x8
	s_load_dword s8, s[4:5], 0x34
	s_ashr_i32 s0, s7, 31
	v_mov_b32_e32 v2, 0
	s_waitcnt lgkmcnt(0)
	s_ashr_i32 s25, s24, 31
	s_mul_i32 s1, s7, s19
	s_mul_hi_u32 s2, s7, s18
	s_add_i32 s1, s2, s1
	s_mul_i32 s0, s0, s18
	s_add_i32 s1, s1, s0
	s_mul_i32 s0, s7, s18
	s_lshl_b64 s[0:1], s[0:1], 2
	s_mul_i32 s34, s7, s24
	s_add_u32 s37, s16, s0
	s_mul_i32 s0, s34, 13
	s_addc_u32 s38, s17, s1
	s_ashr_i32 s1, s0, 31
	s_lshl_b64 s[0:1], s[0:1], 2
	s_add_u32 s2, s22, s0
	s_addc_u32 s3, s23, s1
	s_lshl_b32 s0, s24, 3
	s_ashr_i32 s1, s0, 31
	s_lshl_b64 s[0:1], s[0:1], 2
	s_add_u32 s39, s2, s0
	s_addc_u32 s40, s3, s1
	s_lshl_b64 s[0:1], s[24:25], 2
	s_sub_u32 s25, s39, s0
	s_subb_u32 s30, s40, s1
	s_mul_i32 s3, s24, 12
	s_mul_hi_i32 s2, s24, 12
	s_add_u32 s31, s25, s3
	s_addc_u32 s33, s30, s2
	s_mul_i32 s3, s24, 0xffffffec
	s_mul_hi_i32 s2, s24, 0xffffffec
	s_add_u32 s4, s31, s3
	s_addc_u32 s5, s33, s2
	s_ashr_i32 s7, s6, 31
	s_lshl_b64 s[18:19], s[6:7], 2
	s_add_u32 s2, s37, s18
	s_addc_u32 s3, s38, s19
	s_add_u32 s4, s4, s18
	s_addc_u32 s5, s5, s19
	;; [unrolled: 2-line block ×3, first 2 shown]
	s_and_b32 s36, s8, 0xffff
	s_lshl_b32 s41, s36, 3
	v_cvt_f32_u32_e32 v1, s41
	s_load_dword s42, s[4:5], 0x0
	s_load_dword s7, s[2:3], 0x0
	;; [unrolled: 1-line block ×3, first 2 shown]
	s_sub_i32 s2, 0, s41
	v_rcp_iflag_f32_e32 v1, v1
	s_waitcnt lgkmcnt(0)
	s_add_i32 s0, s42, -1
	s_ashr_i32 s1, s0, 31
	v_mul_f32_e32 v1, 0x4f7ffffe, v1
	v_cvt_u32_f32_e32 v1, v1
	s_abs_i32 s0, s0
	v_readfirstlane_b32 s3, v1
	s_mul_i32 s2, s2, s3
	s_mul_hi_u32 s2, s3, s2
	s_add_i32 s3, s3, s2
	s_mul_hi_u32 s2, s0, s3
	s_mul_i32 s3, s2, s41
	s_sub_i32 s0, s0, s3
	s_add_i32 s3, s2, 1
	s_sub_i32 s4, s0, s41
	s_cmp_ge_u32 s0, s41
	s_cselect_b32 s2, s3, s2
	s_cselect_b32 s0, s4, s0
	s_add_i32 s3, s2, 1
	s_cmp_ge_u32 s0, s41
	s_cselect_b32 s0, s3, s2
	s_xor_b32 s0, s0, s1
	s_sub_i32 s2, s0, s1
	s_cmp_lt_i32 s2, 0
	s_mov_b64 s[0:1], -1
	v_mov_b32_e32 v1, 0
	s_cbranch_scc1 .LBB12_68
; %bb.1:
	s_add_u32 s0, s39, s18
	s_addc_u32 s1, s40, s19
	s_load_dword s43, s[0:1], 0x0
	s_lshl_b32 s0, s36, 1
	s_add_i32 s45, s35, s0
	s_mul_i32 s0, s36, 3
	s_add_i32 s46, s35, s0
	s_lshl_b32 s0, s36, 2
	s_add_i32 s47, s35, s0
	s_mul_i32 s0, s36, 5
	s_add_i32 s48, s35, s0
	s_mul_i32 s0, s36, 6
	s_add_i32 s49, s35, s0
	s_mul_i32 s0, s36, 7
	s_add_i32 s44, s2, 1
	s_add_i32 s50, s35, s0
	;; [unrolled: 1-line block ×3, first 2 shown]
	v_mov_b32_e32 v1, 0
	v_mov_b32_e32 v18, v0
	;; [unrolled: 1-line block ×5, first 2 shown]
                                        ; implicit-def: $vgpr2_vgpr3_vgpr4_vgpr5_vgpr6_vgpr7_vgpr8_vgpr9
                                        ; implicit-def: $vgpr10_vgpr11_vgpr12_vgpr13_vgpr14_vgpr15_vgpr16_vgpr17
	s_branch .LBB12_4
.LBB12_2:                               ;   in Loop: Header=BB12_4 Depth=1
	s_or_b64 exec, exec, s[8:9]
	v_cmp_u_f32_e32 vcc, v9, v9
	v_cndmask_b32_e64 v22, 0, 1, s[4:5]
	v_addc_co_u32_e32 v19, vcc, 0, v19, vcc
	v_add_u32_e32 v21, v21, v22
	v_cmp_lt_i32_e32 vcc, 0, v17
	v_cndmask_b32_e64 v22, 0, 1, s[0:1]
	v_addc_co_u32_e32 v1, vcc, 0, v1, vcc
	v_add_u32_e32 v20, v20, v22
.LBB12_3:                               ;   in Loop: Header=BB12_4 Depth=1
	s_or_b64 exec, exec, s[2:3]
	s_add_i32 s44, s44, -1
	s_cmp_eq_u32 s44, 0
	v_add_u32_e32 v18, s41, v18
	s_cbranch_scc1 .LBB12_67
.LBB12_4:                               ; =>This Inner Loop Header: Depth=1
	v_cmp_gt_i32_e64 s[14:15], s42, v18
	s_and_saveexec_b64 s[0:1], s[14:15]
	s_cbranch_execz .LBB12_6
; %bb.5:                                ;   in Loop: Header=BB12_4 Depth=1
	v_add_u32_e32 v22, s35, v18
	v_ashrrev_i32_e32 v23, 31, v22
	v_lshlrev_b64 v[22:23], 2, v[22:23]
	s_waitcnt vmcnt(1)
	v_mov_b32_e32 v2, s40
	v_add_co_u32_e32 v24, vcc, s39, v22
	v_addc_co_u32_e32 v25, vcc, v2, v23, vcc
	v_mov_b32_e32 v2, s38
	v_add_co_u32_e32 v22, vcc, s37, v22
	v_addc_co_u32_e32 v23, vcc, v2, v23, vcc
	global_load_dword v2, v[22:23], off
	global_load_dword v10, v[24:25], off
.LBB12_6:                               ;   in Loop: Header=BB12_4 Depth=1
	s_or_b64 exec, exec, s[0:1]
	v_add_u32_e32 v22, s36, v18
	v_cmp_gt_i32_e64 s[12:13], s42, v22
	s_and_saveexec_b64 s[0:1], s[12:13]
	s_cbranch_execz .LBB12_8
; %bb.7:                                ;   in Loop: Header=BB12_4 Depth=1
	v_add_u32_e32 v24, s51, v18
	v_ashrrev_i32_e32 v25, 31, v24
	v_lshlrev_b64 v[24:25], 2, v[24:25]
	s_waitcnt vmcnt(1)
	v_mov_b32_e32 v3, s40
	v_add_co_u32_e32 v26, vcc, s39, v24
	v_addc_co_u32_e32 v27, vcc, v3, v25, vcc
	v_mov_b32_e32 v3, s38
	v_add_co_u32_e32 v24, vcc, s37, v24
	v_addc_co_u32_e32 v25, vcc, v3, v25, vcc
	global_load_dword v3, v[24:25], off
	global_load_dword v11, v[26:27], off
.LBB12_8:                               ;   in Loop: Header=BB12_4 Depth=1
	s_or_b64 exec, exec, s[0:1]
	v_add_u32_e32 v22, s36, v22
	v_cmp_gt_i32_e64 s[10:11], s42, v22
	s_and_saveexec_b64 s[0:1], s[10:11]
	s_cbranch_execz .LBB12_10
; %bb.9:                                ;   in Loop: Header=BB12_4 Depth=1
	v_add_u32_e32 v24, s45, v18
	v_ashrrev_i32_e32 v25, 31, v24
	v_lshlrev_b64 v[24:25], 2, v[24:25]
	s_waitcnt vmcnt(1)
	v_mov_b32_e32 v4, s40
	v_add_co_u32_e32 v26, vcc, s39, v24
	v_addc_co_u32_e32 v27, vcc, v4, v25, vcc
	v_mov_b32_e32 v4, s38
	v_add_co_u32_e32 v24, vcc, s37, v24
	v_addc_co_u32_e32 v25, vcc, v4, v25, vcc
	global_load_dword v4, v[24:25], off
	global_load_dword v12, v[26:27], off
.LBB12_10:                              ;   in Loop: Header=BB12_4 Depth=1
	s_or_b64 exec, exec, s[0:1]
	v_add_u32_e32 v22, s36, v22
	v_cmp_gt_i32_e64 s[8:9], s42, v22
	s_and_saveexec_b64 s[0:1], s[8:9]
	s_cbranch_execz .LBB12_12
; %bb.11:                               ;   in Loop: Header=BB12_4 Depth=1
	v_add_u32_e32 v24, s46, v18
	v_ashrrev_i32_e32 v25, 31, v24
	v_lshlrev_b64 v[24:25], 2, v[24:25]
	s_waitcnt vmcnt(1)
	v_mov_b32_e32 v5, s40
	v_add_co_u32_e32 v26, vcc, s39, v24
	v_addc_co_u32_e32 v27, vcc, v5, v25, vcc
	v_mov_b32_e32 v5, s38
	v_add_co_u32_e32 v24, vcc, s37, v24
	v_addc_co_u32_e32 v25, vcc, v5, v25, vcc
	global_load_dword v5, v[24:25], off
	global_load_dword v13, v[26:27], off
.LBB12_12:                              ;   in Loop: Header=BB12_4 Depth=1
	s_or_b64 exec, exec, s[0:1]
	v_add_u32_e32 v22, s36, v22
	v_cmp_gt_i32_e64 s[4:5], s42, v22
	s_and_saveexec_b64 s[0:1], s[4:5]
	s_cbranch_execz .LBB12_14
; %bb.13:                               ;   in Loop: Header=BB12_4 Depth=1
	v_add_u32_e32 v24, s47, v18
	v_ashrrev_i32_e32 v25, 31, v24
	v_lshlrev_b64 v[24:25], 2, v[24:25]
	s_waitcnt vmcnt(1)
	v_mov_b32_e32 v6, s40
	v_add_co_u32_e32 v26, vcc, s39, v24
	v_addc_co_u32_e32 v27, vcc, v6, v25, vcc
	v_mov_b32_e32 v6, s38
	v_add_co_u32_e32 v24, vcc, s37, v24
	v_addc_co_u32_e32 v25, vcc, v6, v25, vcc
	global_load_dword v6, v[24:25], off
	global_load_dword v14, v[26:27], off
.LBB12_14:                              ;   in Loop: Header=BB12_4 Depth=1
	;; [unrolled: 19-line block ×4, first 2 shown]
	s_or_b64 exec, exec, s[16:17]
	v_add_u32_e32 v22, s36, v22
	v_cmp_gt_i32_e32 vcc, s42, v22
	s_and_saveexec_b64 s[22:23], vcc
	s_cbranch_execnz .LBB12_27
; %bb.19:                               ;   in Loop: Header=BB12_4 Depth=1
	s_or_b64 exec, exec, s[22:23]
	s_and_saveexec_b64 s[22:23], s[14:15]
	s_cbranch_execnz .LBB12_28
.LBB12_20:                              ;   in Loop: Header=BB12_4 Depth=1
	s_or_b64 exec, exec, s[22:23]
	s_and_saveexec_b64 s[16:17], s[12:13]
	s_cbranch_execnz .LBB12_33
.LBB12_21:                              ;   in Loop: Header=BB12_4 Depth=1
	s_or_b64 exec, exec, s[16:17]
	s_and_saveexec_b64 s[14:15], s[10:11]
	s_cbranch_execnz .LBB12_38
.LBB12_22:                              ;   in Loop: Header=BB12_4 Depth=1
	s_or_b64 exec, exec, s[14:15]
	s_and_saveexec_b64 s[12:13], s[8:9]
	s_cbranch_execnz .LBB12_43
.LBB12_23:                              ;   in Loop: Header=BB12_4 Depth=1
	s_or_b64 exec, exec, s[12:13]
	s_and_saveexec_b64 s[10:11], s[4:5]
	s_cbranch_execnz .LBB12_48
.LBB12_24:                              ;   in Loop: Header=BB12_4 Depth=1
	s_or_b64 exec, exec, s[10:11]
	s_and_saveexec_b64 s[8:9], s[2:3]
	s_cbranch_execnz .LBB12_53
.LBB12_25:                              ;   in Loop: Header=BB12_4 Depth=1
	s_or_b64 exec, exec, s[8:9]
	s_and_saveexec_b64 s[4:5], s[0:1]
	s_cbranch_execnz .LBB12_58
.LBB12_26:                              ;   in Loop: Header=BB12_4 Depth=1
	s_or_b64 exec, exec, s[4:5]
	s_and_saveexec_b64 s[2:3], vcc
	s_cbranch_execz .LBB12_3
	s_branch .LBB12_63
.LBB12_27:                              ;   in Loop: Header=BB12_4 Depth=1
	v_add_u32_e32 v22, s50, v18
	v_ashrrev_i32_e32 v23, 31, v22
	v_lshlrev_b64 v[22:23], 2, v[22:23]
	s_waitcnt vmcnt(1)
	v_mov_b32_e32 v9, s40
	v_add_co_u32_e64 v24, s[16:17], s39, v22
	v_addc_co_u32_e64 v25, s[16:17], v9, v23, s[16:17]
	v_mov_b32_e32 v9, s38
	v_add_co_u32_e64 v22, s[16:17], s37, v22
	v_addc_co_u32_e64 v23, s[16:17], v9, v23, s[16:17]
	global_load_dword v9, v[22:23], off
	global_load_dword v17, v[24:25], off
	s_or_b64 exec, exec, s[22:23]
	s_and_saveexec_b64 s[22:23], s[14:15]
	s_cbranch_execz .LBB12_20
.LBB12_28:                              ;   in Loop: Header=BB12_4 Depth=1
	s_waitcnt vmcnt(0) lgkmcnt(0)
	v_cmp_ge_i32_e64 s[14:15], s43, v10
	s_mov_b64 s[26:27], -1
	s_and_saveexec_b64 s[28:29], s[14:15]
; %bb.29:                               ;   in Loop: Header=BB12_4 Depth=1
	v_cmp_eq_u32_e64 s[14:15], s43, v10
	v_cmp_gt_f32_e64 s[16:17], s7, v2
	s_and_b64 s[14:15], s[14:15], s[16:17]
	s_orn2_b64 s[26:27], s[14:15], exec
; %bb.30:                               ;   in Loop: Header=BB12_4 Depth=1
	s_or_b64 exec, exec, s[28:29]
	v_cmp_eq_u32_e64 s[14:15], s43, v10
	v_cmp_eq_f32_e64 s[16:17], s7, v2
	s_and_b64 s[14:15], s[14:15], s[16:17]
	s_mov_b64 s[16:17], 0
	s_and_saveexec_b64 s[28:29], s[14:15]
; %bb.31:                               ;   in Loop: Header=BB12_4 Depth=1
	v_add_u32_e32 v22, s35, v18
	v_cmp_gt_i32_e64 s[14:15], s6, v22
	s_and_b64 s[16:17], s[14:15], exec
; %bb.32:                               ;   in Loop: Header=BB12_4 Depth=1
	s_or_b64 exec, exec, s[28:29]
	v_cmp_u_f32_e64 s[14:15], v2, v2
	v_cndmask_b32_e64 v22, 0, 1, s[26:27]
	v_addc_co_u32_e64 v19, s[14:15], 0, v19, s[14:15]
	v_add_u32_e32 v21, v21, v22
	v_cmp_lt_i32_e64 s[14:15], 0, v10
	v_cndmask_b32_e64 v22, 0, 1, s[16:17]
	v_addc_co_u32_e64 v1, s[14:15], 0, v1, s[14:15]
	v_add_u32_e32 v20, v20, v22
	s_or_b64 exec, exec, s[22:23]
	s_and_saveexec_b64 s[16:17], s[12:13]
	s_cbranch_execz .LBB12_21
.LBB12_33:                              ;   in Loop: Header=BB12_4 Depth=1
	s_waitcnt vmcnt(0) lgkmcnt(0)
	v_cmp_ge_i32_e64 s[12:13], s43, v11
	s_mov_b64 s[22:23], -1
	s_and_saveexec_b64 s[26:27], s[12:13]
; %bb.34:                               ;   in Loop: Header=BB12_4 Depth=1
	v_cmp_eq_u32_e64 s[12:13], s43, v11
	v_cmp_gt_f32_e64 s[14:15], s7, v3
	s_and_b64 s[12:13], s[12:13], s[14:15]
	s_orn2_b64 s[22:23], s[12:13], exec
; %bb.35:                               ;   in Loop: Header=BB12_4 Depth=1
	s_or_b64 exec, exec, s[26:27]
	v_cmp_eq_u32_e64 s[12:13], s43, v11
	v_cmp_eq_f32_e64 s[14:15], s7, v3
	s_and_b64 s[12:13], s[12:13], s[14:15]
	s_mov_b64 s[14:15], 0
	s_and_saveexec_b64 s[26:27], s[12:13]
; %bb.36:                               ;   in Loop: Header=BB12_4 Depth=1
	v_add_u32_e32 v22, s51, v18
	v_cmp_gt_i32_e64 s[12:13], s6, v22
	s_and_b64 s[14:15], s[12:13], exec
; %bb.37:                               ;   in Loop: Header=BB12_4 Depth=1
	s_or_b64 exec, exec, s[26:27]
	v_cmp_u_f32_e64 s[12:13], v3, v3
	v_cndmask_b32_e64 v22, 0, 1, s[22:23]
	v_addc_co_u32_e64 v19, s[12:13], 0, v19, s[12:13]
	v_add_u32_e32 v21, v21, v22
	v_cmp_lt_i32_e64 s[12:13], 0, v11
	v_cndmask_b32_e64 v22, 0, 1, s[14:15]
	v_addc_co_u32_e64 v1, s[12:13], 0, v1, s[12:13]
	v_add_u32_e32 v20, v20, v22
	s_or_b64 exec, exec, s[16:17]
	s_and_saveexec_b64 s[14:15], s[10:11]
	s_cbranch_execz .LBB12_22
.LBB12_38:                              ;   in Loop: Header=BB12_4 Depth=1
	s_waitcnt vmcnt(0) lgkmcnt(0)
	v_cmp_ge_i32_e64 s[10:11], s43, v12
	s_mov_b64 s[16:17], -1
	s_and_saveexec_b64 s[22:23], s[10:11]
; %bb.39:                               ;   in Loop: Header=BB12_4 Depth=1
	v_cmp_eq_u32_e64 s[10:11], s43, v12
	v_cmp_gt_f32_e64 s[12:13], s7, v4
	s_and_b64 s[10:11], s[10:11], s[12:13]
	s_orn2_b64 s[16:17], s[10:11], exec
; %bb.40:                               ;   in Loop: Header=BB12_4 Depth=1
	s_or_b64 exec, exec, s[22:23]
	v_cmp_eq_u32_e64 s[10:11], s43, v12
	v_cmp_eq_f32_e64 s[12:13], s7, v4
	s_and_b64 s[10:11], s[10:11], s[12:13]
	s_mov_b64 s[12:13], 0
	s_and_saveexec_b64 s[22:23], s[10:11]
; %bb.41:                               ;   in Loop: Header=BB12_4 Depth=1
	v_add_u32_e32 v22, s45, v18
	v_cmp_gt_i32_e64 s[10:11], s6, v22
	s_and_b64 s[12:13], s[10:11], exec
; %bb.42:                               ;   in Loop: Header=BB12_4 Depth=1
	s_or_b64 exec, exec, s[22:23]
	v_cmp_u_f32_e64 s[10:11], v4, v4
	v_cndmask_b32_e64 v22, 0, 1, s[16:17]
	v_addc_co_u32_e64 v19, s[10:11], 0, v19, s[10:11]
	v_add_u32_e32 v21, v21, v22
	v_cmp_lt_i32_e64 s[10:11], 0, v12
	v_cndmask_b32_e64 v22, 0, 1, s[12:13]
	v_addc_co_u32_e64 v1, s[10:11], 0, v1, s[10:11]
	v_add_u32_e32 v20, v20, v22
	s_or_b64 exec, exec, s[14:15]
	s_and_saveexec_b64 s[12:13], s[8:9]
	s_cbranch_execz .LBB12_23
.LBB12_43:                              ;   in Loop: Header=BB12_4 Depth=1
	s_waitcnt vmcnt(0) lgkmcnt(0)
	v_cmp_ge_i32_e64 s[8:9], s43, v13
	s_mov_b64 s[14:15], -1
	s_and_saveexec_b64 s[16:17], s[8:9]
; %bb.44:                               ;   in Loop: Header=BB12_4 Depth=1
	v_cmp_eq_u32_e64 s[8:9], s43, v13
	v_cmp_gt_f32_e64 s[10:11], s7, v5
	s_and_b64 s[8:9], s[8:9], s[10:11]
	s_orn2_b64 s[14:15], s[8:9], exec
; %bb.45:                               ;   in Loop: Header=BB12_4 Depth=1
	s_or_b64 exec, exec, s[16:17]
	v_cmp_eq_u32_e64 s[8:9], s43, v13
	v_cmp_eq_f32_e64 s[10:11], s7, v5
	s_and_b64 s[8:9], s[8:9], s[10:11]
	s_mov_b64 s[10:11], 0
	s_and_saveexec_b64 s[16:17], s[8:9]
; %bb.46:                               ;   in Loop: Header=BB12_4 Depth=1
	v_add_u32_e32 v22, s46, v18
	v_cmp_gt_i32_e64 s[8:9], s6, v22
	s_and_b64 s[10:11], s[8:9], exec
; %bb.47:                               ;   in Loop: Header=BB12_4 Depth=1
	s_or_b64 exec, exec, s[16:17]
	v_cmp_u_f32_e64 s[8:9], v5, v5
	v_cndmask_b32_e64 v22, 0, 1, s[14:15]
	v_addc_co_u32_e64 v19, s[8:9], 0, v19, s[8:9]
	v_add_u32_e32 v21, v21, v22
	v_cmp_lt_i32_e64 s[8:9], 0, v13
	v_cndmask_b32_e64 v22, 0, 1, s[10:11]
	v_addc_co_u32_e64 v1, s[8:9], 0, v1, s[8:9]
	v_add_u32_e32 v20, v20, v22
	s_or_b64 exec, exec, s[12:13]
	s_and_saveexec_b64 s[10:11], s[4:5]
	s_cbranch_execz .LBB12_24
.LBB12_48:                              ;   in Loop: Header=BB12_4 Depth=1
	s_waitcnt vmcnt(0) lgkmcnt(0)
	v_cmp_ge_i32_e64 s[4:5], s43, v14
	s_mov_b64 s[12:13], -1
	s_and_saveexec_b64 s[14:15], s[4:5]
; %bb.49:                               ;   in Loop: Header=BB12_4 Depth=1
	v_cmp_eq_u32_e64 s[4:5], s43, v14
	v_cmp_gt_f32_e64 s[8:9], s7, v6
	s_and_b64 s[4:5], s[4:5], s[8:9]
	s_orn2_b64 s[12:13], s[4:5], exec
; %bb.50:                               ;   in Loop: Header=BB12_4 Depth=1
	s_or_b64 exec, exec, s[14:15]
	v_cmp_eq_u32_e64 s[4:5], s43, v14
	v_cmp_eq_f32_e64 s[8:9], s7, v6
	s_and_b64 s[4:5], s[4:5], s[8:9]
	s_mov_b64 s[8:9], 0
	s_and_saveexec_b64 s[14:15], s[4:5]
; %bb.51:                               ;   in Loop: Header=BB12_4 Depth=1
	v_add_u32_e32 v22, s47, v18
	v_cmp_gt_i32_e64 s[4:5], s6, v22
	s_and_b64 s[8:9], s[4:5], exec
; %bb.52:                               ;   in Loop: Header=BB12_4 Depth=1
	s_or_b64 exec, exec, s[14:15]
	v_cmp_u_f32_e64 s[4:5], v6, v6
	v_cndmask_b32_e64 v22, 0, 1, s[12:13]
	v_addc_co_u32_e64 v19, s[4:5], 0, v19, s[4:5]
	v_add_u32_e32 v21, v21, v22
	v_cmp_lt_i32_e64 s[4:5], 0, v14
	v_cndmask_b32_e64 v22, 0, 1, s[8:9]
	v_addc_co_u32_e64 v1, s[4:5], 0, v1, s[4:5]
	v_add_u32_e32 v20, v20, v22
	s_or_b64 exec, exec, s[10:11]
	s_and_saveexec_b64 s[8:9], s[2:3]
	s_cbranch_execz .LBB12_25
.LBB12_53:                              ;   in Loop: Header=BB12_4 Depth=1
	s_waitcnt vmcnt(0) lgkmcnt(0)
	v_cmp_ge_i32_e64 s[2:3], s43, v15
	s_mov_b64 s[10:11], -1
	s_and_saveexec_b64 s[12:13], s[2:3]
; %bb.54:                               ;   in Loop: Header=BB12_4 Depth=1
	v_cmp_eq_u32_e64 s[2:3], s43, v15
	v_cmp_gt_f32_e64 s[4:5], s7, v7
	s_and_b64 s[2:3], s[2:3], s[4:5]
	s_orn2_b64 s[10:11], s[2:3], exec
; %bb.55:                               ;   in Loop: Header=BB12_4 Depth=1
	s_or_b64 exec, exec, s[12:13]
	v_cmp_eq_u32_e64 s[2:3], s43, v15
	v_cmp_eq_f32_e64 s[4:5], s7, v7
	s_and_b64 s[2:3], s[2:3], s[4:5]
	s_mov_b64 s[4:5], 0
	s_and_saveexec_b64 s[12:13], s[2:3]
; %bb.56:                               ;   in Loop: Header=BB12_4 Depth=1
	v_add_u32_e32 v22, s48, v18
	v_cmp_gt_i32_e64 s[2:3], s6, v22
	s_and_b64 s[4:5], s[2:3], exec
; %bb.57:                               ;   in Loop: Header=BB12_4 Depth=1
	s_or_b64 exec, exec, s[12:13]
	v_cmp_u_f32_e64 s[2:3], v7, v7
	v_cndmask_b32_e64 v22, 0, 1, s[10:11]
	v_addc_co_u32_e64 v19, s[2:3], 0, v19, s[2:3]
	v_add_u32_e32 v21, v21, v22
	v_cmp_lt_i32_e64 s[2:3], 0, v15
	v_cndmask_b32_e64 v22, 0, 1, s[4:5]
	v_addc_co_u32_e64 v1, s[2:3], 0, v1, s[2:3]
	v_add_u32_e32 v20, v20, v22
	s_or_b64 exec, exec, s[8:9]
	s_and_saveexec_b64 s[4:5], s[0:1]
	s_cbranch_execz .LBB12_26
.LBB12_58:                              ;   in Loop: Header=BB12_4 Depth=1
	s_waitcnt vmcnt(0) lgkmcnt(0)
	v_cmp_ge_i32_e64 s[0:1], s43, v16
	s_mov_b64 s[8:9], -1
	s_and_saveexec_b64 s[10:11], s[0:1]
; %bb.59:                               ;   in Loop: Header=BB12_4 Depth=1
	v_cmp_eq_u32_e64 s[0:1], s43, v16
	v_cmp_gt_f32_e64 s[2:3], s7, v8
	s_and_b64 s[0:1], s[0:1], s[2:3]
	s_orn2_b64 s[8:9], s[0:1], exec
; %bb.60:                               ;   in Loop: Header=BB12_4 Depth=1
	s_or_b64 exec, exec, s[10:11]
	v_cmp_eq_u32_e64 s[0:1], s43, v16
	v_cmp_eq_f32_e64 s[2:3], s7, v8
	s_and_b64 s[0:1], s[0:1], s[2:3]
	s_mov_b64 s[2:3], 0
	s_and_saveexec_b64 s[10:11], s[0:1]
; %bb.61:                               ;   in Loop: Header=BB12_4 Depth=1
	v_add_u32_e32 v22, s49, v18
	v_cmp_gt_i32_e64 s[0:1], s6, v22
	s_and_b64 s[2:3], s[0:1], exec
; %bb.62:                               ;   in Loop: Header=BB12_4 Depth=1
	s_or_b64 exec, exec, s[10:11]
	v_cmp_u_f32_e64 s[0:1], v8, v8
	v_cndmask_b32_e64 v22, 0, 1, s[8:9]
	v_addc_co_u32_e64 v19, s[0:1], 0, v19, s[0:1]
	v_add_u32_e32 v21, v21, v22
	v_cmp_lt_i32_e64 s[0:1], 0, v16
	v_cndmask_b32_e64 v22, 0, 1, s[2:3]
	v_addc_co_u32_e64 v1, s[0:1], 0, v1, s[0:1]
	v_add_u32_e32 v20, v20, v22
	s_or_b64 exec, exec, s[4:5]
	s_and_saveexec_b64 s[2:3], vcc
	s_cbranch_execz .LBB12_3
.LBB12_63:                              ;   in Loop: Header=BB12_4 Depth=1
	s_waitcnt vmcnt(0) lgkmcnt(0)
	v_cmp_ge_i32_e32 vcc, s43, v17
	s_mov_b64 s[4:5], -1
	s_and_saveexec_b64 s[8:9], vcc
; %bb.64:                               ;   in Loop: Header=BB12_4 Depth=1
	v_cmp_eq_u32_e32 vcc, s43, v17
	v_cmp_gt_f32_e64 s[0:1], s7, v9
	s_and_b64 s[0:1], vcc, s[0:1]
	s_orn2_b64 s[4:5], s[0:1], exec
; %bb.65:                               ;   in Loop: Header=BB12_4 Depth=1
	s_or_b64 exec, exec, s[8:9]
	v_cmp_eq_u32_e32 vcc, s43, v17
	v_cmp_eq_f32_e64 s[0:1], s7, v9
	s_and_b64 s[10:11], vcc, s[0:1]
	s_mov_b64 s[0:1], 0
	s_and_saveexec_b64 s[8:9], s[10:11]
	s_cbranch_execz .LBB12_2
; %bb.66:                               ;   in Loop: Header=BB12_4 Depth=1
	v_add_u32_e32 v22, s50, v18
	v_cmp_gt_i32_e32 vcc, s6, v22
	s_and_b64 s[0:1], vcc, exec
	s_branch .LBB12_2
.LBB12_67:
	s_waitcnt vmcnt(1)
	v_add_u32_e32 v2, v20, v21
	v_cmp_eq_u32_e64 s[0:1], 0, v19
.LBB12_68:
	v_lshlrev_b32_e32 v3, 2, v0
	s_cmp_lt_u32 s36, 2
	ds_write2st64_b32 v3, v1, v2 offset1:8
	s_cbranch_scc1 .LBB12_74
; %bb.69:
	v_or_b32_e32 v4, 0x800, v3
.LBB12_70:                              ; =>This Inner Loop Header: Depth=1
	s_lshr_b32 s4, s36, 1
	v_cmp_gt_u32_e32 vcc, s4, v0
	s_waitcnt lgkmcnt(0)
	s_barrier
	s_and_saveexec_b64 s[2:3], vcc
	s_cbranch_execz .LBB12_72
; %bb.71:                               ;   in Loop: Header=BB12_70 Depth=1
	s_lshl_b32 s5, s4, 2
	v_add_u32_e32 v5, s5, v4
	v_add_u32_e32 v6, s5, v3
	ds_read_b32 v5, v5
	ds_read_b32 v6, v6
	s_waitcnt lgkmcnt(1)
	v_add_u32_e32 v2, v5, v2
	s_waitcnt lgkmcnt(0)
	v_add_u32_e32 v1, v6, v1
	ds_write_b32 v4, v2
	ds_write_b32 v3, v1
.LBB12_72:                              ;   in Loop: Header=BB12_70 Depth=1
	s_or_b64 exec, exec, s[2:3]
	s_cmp_lt_u32 s36, 4
	s_cbranch_scc1 .LBB12_74
; %bb.73:                               ;   in Loop: Header=BB12_70 Depth=1
	s_mov_b32 s36, s4
	s_branch .LBB12_70
.LBB12_74:
	s_mul_i32 s4, s34, 10
	s_mul_i32 s2, s24, 6
	s_ashr_i32 s5, s4, 31
	s_xor_b64 s[0:1], s[0:1], -1
	s_ashr_i32 s3, s2, 31
	s_lshl_b64 s[4:5], s[4:5], 2
	s_add_u32 s4, s20, s4
	s_addc_u32 s5, s21, s5
	s_lshl_b64 s[2:3], s[2:3], 2
	s_add_u32 s4, s4, s2
	s_addc_u32 s5, s5, s3
	v_cmp_eq_u32_e32 vcc, 0, v0
	s_and_saveexec_b64 s[2:3], vcc
	s_cbranch_execz .LBB12_76
; %bb.75:
	v_add_u32_e32 v2, s35, v2
	v_ashrrev_i32_e32 v3, 31, v2
	v_lshlrev_b64 v[2:3], 2, v[2:3]
	v_mov_b32_e32 v0, s5
	v_add_co_u32_e32 v4, vcc, s4, v2
	v_addc_co_u32_e32 v5, vcc, v0, v3, vcc
	v_mov_b32_e32 v0, s33
	v_add_co_u32_e32 v6, vcc, s31, v2
	v_addc_co_u32_e32 v7, vcc, v0, v3, vcc
	;; [unrolled: 3-line block ×3, first 2 shown]
	v_mov_b32_e32 v0, s6
	global_store_dword v[2:3], v1, off
	global_store_dword v[6:7], v0, off
	v_mov_b32_e32 v0, s7
	global_store_dword v[4:5], v0, off
.LBB12_76:
	s_or_b64 exec, exec, s[2:3]
	s_waitcnt lgkmcnt(0)
	s_barrier
	s_and_saveexec_b64 s[2:3], s[0:1]
	s_cbranch_execz .LBB12_78
; %bb.77:
	s_add_u32 s0, s4, s18
	s_addc_u32 s1, s5, s19
	v_mov_b32_e32 v0, 0
	v_mov_b32_e32 v1, 0x7fc00000
	global_store_dword v0, v1, s[0:1]
.LBB12_78:
	s_endpgm
	.section	.rodata,"a",@progbits
	.p2align	6, 0x0
	.amdhsa_kernel _ZN9rocsolver6v33100L31stedc_mergePrepare_SortD_kernelIfEEviiPT_lS3_Pi
		.amdhsa_group_segment_fixed_size 4096
		.amdhsa_private_segment_fixed_size 0
		.amdhsa_kernarg_size 296
		.amdhsa_user_sgpr_count 6
		.amdhsa_user_sgpr_private_segment_buffer 1
		.amdhsa_user_sgpr_dispatch_ptr 0
		.amdhsa_user_sgpr_queue_ptr 0
		.amdhsa_user_sgpr_kernarg_segment_ptr 1
		.amdhsa_user_sgpr_dispatch_id 0
		.amdhsa_user_sgpr_flat_scratch_init 0
		.amdhsa_user_sgpr_kernarg_preload_length 0
		.amdhsa_user_sgpr_kernarg_preload_offset 0
		.amdhsa_user_sgpr_private_segment_size 0
		.amdhsa_uses_dynamic_stack 0
		.amdhsa_system_sgpr_private_segment_wavefront_offset 0
		.amdhsa_system_sgpr_workgroup_id_x 1
		.amdhsa_system_sgpr_workgroup_id_y 1
		.amdhsa_system_sgpr_workgroup_id_z 0
		.amdhsa_system_sgpr_workgroup_info 0
		.amdhsa_system_vgpr_workitem_id 0
		.amdhsa_next_free_vgpr 28
		.amdhsa_next_free_sgpr 52
		.amdhsa_accum_offset 28
		.amdhsa_reserve_vcc 1
		.amdhsa_reserve_flat_scratch 0
		.amdhsa_float_round_mode_32 0
		.amdhsa_float_round_mode_16_64 0
		.amdhsa_float_denorm_mode_32 3
		.amdhsa_float_denorm_mode_16_64 3
		.amdhsa_dx10_clamp 1
		.amdhsa_ieee_mode 1
		.amdhsa_fp16_overflow 0
		.amdhsa_tg_split 0
		.amdhsa_exception_fp_ieee_invalid_op 0
		.amdhsa_exception_fp_denorm_src 0
		.amdhsa_exception_fp_ieee_div_zero 0
		.amdhsa_exception_fp_ieee_overflow 0
		.amdhsa_exception_fp_ieee_underflow 0
		.amdhsa_exception_fp_ieee_inexact 0
		.amdhsa_exception_int_div_zero 0
	.end_amdhsa_kernel
	.section	.text._ZN9rocsolver6v33100L31stedc_mergePrepare_SortD_kernelIfEEviiPT_lS3_Pi,"axG",@progbits,_ZN9rocsolver6v33100L31stedc_mergePrepare_SortD_kernelIfEEviiPT_lS3_Pi,comdat
.Lfunc_end12:
	.size	_ZN9rocsolver6v33100L31stedc_mergePrepare_SortD_kernelIfEEviiPT_lS3_Pi, .Lfunc_end12-_ZN9rocsolver6v33100L31stedc_mergePrepare_SortD_kernelIfEEviiPT_lS3_Pi
                                        ; -- End function
	.section	.AMDGPU.csdata,"",@progbits
; Kernel info:
; codeLenInByte = 2884
; NumSgprs: 56
; NumVgprs: 28
; NumAgprs: 0
; TotalNumVgprs: 28
; ScratchSize: 0
; MemoryBound: 0
; FloatMode: 240
; IeeeMode: 1
; LDSByteSize: 4096 bytes/workgroup (compile time only)
; SGPRBlocks: 6
; VGPRBlocks: 3
; NumSGPRsForWavesPerEU: 56
; NumVGPRsForWavesPerEU: 28
; AccumOffset: 28
; Occupancy: 8
; WaveLimiterHint : 1
; COMPUTE_PGM_RSRC2:SCRATCH_EN: 0
; COMPUTE_PGM_RSRC2:USER_SGPR: 6
; COMPUTE_PGM_RSRC2:TRAP_HANDLER: 0
; COMPUTE_PGM_RSRC2:TGID_X_EN: 1
; COMPUTE_PGM_RSRC2:TGID_Y_EN: 1
; COMPUTE_PGM_RSRC2:TGID_Z_EN: 0
; COMPUTE_PGM_RSRC2:TIDIG_COMP_CNT: 0
; COMPUTE_PGM_RSRC3_GFX90A:ACCUM_OFFSET: 6
; COMPUTE_PGM_RSRC3_GFX90A:TG_SPLIT: 0
	.section	.text._ZN9rocsolver6v33100L38stedc_mergePrepare_SetCandFlags_kernelIfEEviiPT_lS3_Pi,"axG",@progbits,_ZN9rocsolver6v33100L38stedc_mergePrepare_SetCandFlags_kernelIfEEviiPT_lS3_Pi,comdat
	.globl	_ZN9rocsolver6v33100L38stedc_mergePrepare_SetCandFlags_kernelIfEEviiPT_lS3_Pi ; -- Begin function _ZN9rocsolver6v33100L38stedc_mergePrepare_SetCandFlags_kernelIfEEviiPT_lS3_Pi
	.p2align	8
	.type	_ZN9rocsolver6v33100L38stedc_mergePrepare_SetCandFlags_kernelIfEEviiPT_lS3_Pi,@function
_ZN9rocsolver6v33100L38stedc_mergePrepare_SetCandFlags_kernelIfEEviiPT_lS3_Pi: ; @_ZN9rocsolver6v33100L38stedc_mergePrepare_SetCandFlags_kernelIfEEviiPT_lS3_Pi
; %bb.0:
	s_load_dword s0, s[4:5], 0x34
	s_load_dword s8, s[4:5], 0x4
	s_waitcnt lgkmcnt(0)
	s_and_b32 s0, s0, 0xffff
	s_mul_i32 s6, s6, s0
	v_add_u32_e32 v0, s6, v0
	v_cmp_gt_i32_e32 vcc, s8, v0
	s_and_saveexec_b64 s[0:1], vcc
	s_cbranch_execz .LBB13_6
; %bb.1:
	s_load_dwordx4 s[0:3], s[4:5], 0x18
	s_mul_i32 s10, s7, s8
	s_mul_i32 s4, s10, 13
	s_ashr_i32 s5, s4, 31
	s_lshl_b64 s[4:5], s[4:5], 2
	s_waitcnt lgkmcnt(0)
	s_add_u32 s4, s2, s4
	s_mul_i32 s2, s8, 6
	s_addc_u32 s5, s3, s5
	s_ashr_i32 s3, s2, 31
	s_lshl_b64 s[2:3], s[2:3], 2
	s_add_u32 s2, s4, s2
	s_addc_u32 s3, s5, s3
	s_ashr_i32 s9, s8, 31
	s_mul_i32 s5, s8, 20
	s_mul_hi_i32 s4, s8, 20
	s_add_u32 s6, s2, s5
	s_addc_u32 s7, s3, s4
	s_mul_i32 s4, s10, 10
	s_ashr_i32 s5, s4, 31
	s_lshl_b64 s[4:5], s[4:5], 2
	s_add_u32 s4, s0, s4
	s_addc_u32 s5, s1, s5
	s_lshl_b32 s0, s8, 2
	s_ashr_i32 s1, s0, 31
	s_lshl_b64 s[0:1], s[0:1], 2
	s_add_u32 s4, s4, s0
	s_addc_u32 s5, s5, s1
	s_lshl_b64 s[0:1], s[8:9], 3
	s_add_u32 s10, s4, s0
	v_add_u32_e32 v1, -1, v0
	v_cmp_lt_i32_e32 vcc, 0, v0
	s_addc_u32 s11, s5, s1
	s_lshl_b64 s[0:1], s[8:9], 4
	v_cndmask_b32_e32 v4, 0, v1, vcc
	v_ashrrev_i32_e32 v1, 31, v0
	s_sub_u32 s9, s6, s0
	v_lshlrev_b64 v[2:3], 2, v[0:1]
	s_subb_u32 s12, s7, s1
	v_mov_b32_e32 v1, s5
	v_add_co_u32_e64 v6, s[0:1], s4, v2
	v_addc_co_u32_e64 v7, s[0:1], v1, v3, s[0:1]
	v_mov_b32_e32 v1, s11
	v_add_co_u32_e64 v8, s[0:1], s10, v2
	v_ashrrev_i32_e32 v5, 31, v4
	v_addc_co_u32_e64 v9, s[0:1], v1, v3, s[0:1]
	v_lshlrev_b64 v[10:11], 2, v[4:5]
	v_add_co_u32_e64 v12, s[0:1], s10, v10
	v_addc_co_u32_e64 v13, s[0:1], v1, v11, s[0:1]
	global_load_dword v1, v[6:7], off
	global_load_dword v4, v[8:9], off
	;; [unrolled: 1-line block ×3, first 2 shown]
	v_mov_b32_e32 v6, s12
	v_add_co_u32_e64 v8, s[0:1], s9, v2
	v_addc_co_u32_e64 v9, s[0:1], v6, v3, s[0:1]
	v_mov_b32_e32 v6, s3
	v_add_co_u32_e64 v12, s[0:1], s2, v2
	v_addc_co_u32_e64 v13, s[0:1], v6, v3, s[0:1]
	global_load_dword v6, v[8:9], off
	global_load_dword v7, v[12:13], off
	v_mov_b32_e32 v9, s3
	v_add_co_u32_e64 v8, s[0:1], s2, v10
	v_addc_co_u32_e64 v9, s[0:1], v9, v11, s[0:1]
	global_load_dword v8, v[8:9], off
	v_mov_b32_e32 v10, 0
	s_waitcnt vmcnt(2)
	v_add_u32_e32 v11, -1, v6
	s_waitcnt vmcnt(1)
	v_sub_u32_e32 v9, v0, v7
	v_cmp_lt_i32_e64 s[0:1], v9, v11
	s_and_saveexec_b64 s[4:5], s[0:1]
	s_cbranch_execz .LBB13_5
; %bb.2:
	v_add_u32_e32 v10, 1, v0
	v_cmp_gt_i32_e64 s[0:1], s8, v10
	v_cndmask_b32_e64 v10, v0, v10, s[0:1]
	v_ashrrev_i32_e32 v11, 31, v10
	v_lshlrev_b64 v[10:11], 2, v[10:11]
	v_mov_b32_e32 v13, s11
	v_add_co_u32_e64 v12, s[0:1], s10, v10
	v_addc_co_u32_e64 v13, s[0:1], v13, v11, s[0:1]
	v_mov_b32_e32 v14, s3
	v_add_co_u32_e64 v10, s[0:1], s2, v10
	v_addc_co_u32_e64 v11, s[0:1], v14, v11, s[0:1]
	global_load_dword v14, v[10:11], off
	global_load_dword v15, v[12:13], off
	s_waitcnt vmcnt(1)
	v_cmp_eq_u32_e64 s[0:1], v7, v14
	s_waitcnt vmcnt(0)
	v_sub_f32_e32 v10, v4, v15
	v_and_b32_e32 v10, 0x7fffffff, v10
	v_cmp_le_f32_e64 s[2:3], v10, v1
	s_and_b64 s[0:1], s[0:1], s[2:3]
	v_mov_b32_e32 v10, 0
	s_and_saveexec_b64 s[2:3], s[0:1]
; %bb.3:
	s_add_i32 s0, s8, -1
	v_cmp_ne_u32_e64 s[0:1], s0, v0
	v_cndmask_b32_e64 v10, 0, 1, s[0:1]
; %bb.4:
	s_or_b64 exec, exec, s[2:3]
.LBB13_5:
	s_or_b64 exec, exec, s[4:5]
	v_sub_f32_e32 v0, v4, v5
	v_cmp_ge_i32_e64 s[0:1], v9, v6
	s_waitcnt vmcnt(0)
	v_cmp_ne_u32_e64 s[2:3], v7, v8
	v_and_b32_e32 v0, 0x7fffffff, v0
	s_or_b64 s[2:3], s[0:1], s[2:3]
	v_cmp_nle_f32_e64 s[0:1], v0, v1
	v_cndmask_b32_e64 v0, 0, 2, vcc
	s_or_b64 s[0:1], s[2:3], s[0:1]
	v_cndmask_b32_e64 v0, v0, 0, s[0:1]
	v_or_b32_e32 v4, v10, v0
	v_mov_b32_e32 v1, s7
	v_add_co_u32_e32 v0, vcc, s6, v2
	v_addc_co_u32_e32 v1, vcc, v1, v3, vcc
	global_store_dword v[0:1], v4, off
.LBB13_6:
	s_endpgm
	.section	.rodata,"a",@progbits
	.p2align	6, 0x0
	.amdhsa_kernel _ZN9rocsolver6v33100L38stedc_mergePrepare_SetCandFlags_kernelIfEEviiPT_lS3_Pi
		.amdhsa_group_segment_fixed_size 0
		.amdhsa_private_segment_fixed_size 0
		.amdhsa_kernarg_size 296
		.amdhsa_user_sgpr_count 6
		.amdhsa_user_sgpr_private_segment_buffer 1
		.amdhsa_user_sgpr_dispatch_ptr 0
		.amdhsa_user_sgpr_queue_ptr 0
		.amdhsa_user_sgpr_kernarg_segment_ptr 1
		.amdhsa_user_sgpr_dispatch_id 0
		.amdhsa_user_sgpr_flat_scratch_init 0
		.amdhsa_user_sgpr_kernarg_preload_length 0
		.amdhsa_user_sgpr_kernarg_preload_offset 0
		.amdhsa_user_sgpr_private_segment_size 0
		.amdhsa_uses_dynamic_stack 0
		.amdhsa_system_sgpr_private_segment_wavefront_offset 0
		.amdhsa_system_sgpr_workgroup_id_x 1
		.amdhsa_system_sgpr_workgroup_id_y 1
		.amdhsa_system_sgpr_workgroup_id_z 0
		.amdhsa_system_sgpr_workgroup_info 0
		.amdhsa_system_vgpr_workitem_id 0
		.amdhsa_next_free_vgpr 16
		.amdhsa_next_free_sgpr 13
		.amdhsa_accum_offset 16
		.amdhsa_reserve_vcc 1
		.amdhsa_reserve_flat_scratch 0
		.amdhsa_float_round_mode_32 0
		.amdhsa_float_round_mode_16_64 0
		.amdhsa_float_denorm_mode_32 3
		.amdhsa_float_denorm_mode_16_64 3
		.amdhsa_dx10_clamp 1
		.amdhsa_ieee_mode 1
		.amdhsa_fp16_overflow 0
		.amdhsa_tg_split 0
		.amdhsa_exception_fp_ieee_invalid_op 0
		.amdhsa_exception_fp_denorm_src 0
		.amdhsa_exception_fp_ieee_div_zero 0
		.amdhsa_exception_fp_ieee_overflow 0
		.amdhsa_exception_fp_ieee_underflow 0
		.amdhsa_exception_fp_ieee_inexact 0
		.amdhsa_exception_int_div_zero 0
	.end_amdhsa_kernel
	.section	.text._ZN9rocsolver6v33100L38stedc_mergePrepare_SetCandFlags_kernelIfEEviiPT_lS3_Pi,"axG",@progbits,_ZN9rocsolver6v33100L38stedc_mergePrepare_SetCandFlags_kernelIfEEviiPT_lS3_Pi,comdat
.Lfunc_end13:
	.size	_ZN9rocsolver6v33100L38stedc_mergePrepare_SetCandFlags_kernelIfEEviiPT_lS3_Pi, .Lfunc_end13-_ZN9rocsolver6v33100L38stedc_mergePrepare_SetCandFlags_kernelIfEEviiPT_lS3_Pi
                                        ; -- End function
	.section	.AMDGPU.csdata,"",@progbits
; Kernel info:
; codeLenInByte = 680
; NumSgprs: 17
; NumVgprs: 16
; NumAgprs: 0
; TotalNumVgprs: 16
; ScratchSize: 0
; MemoryBound: 0
; FloatMode: 240
; IeeeMode: 1
; LDSByteSize: 0 bytes/workgroup (compile time only)
; SGPRBlocks: 2
; VGPRBlocks: 1
; NumSGPRsForWavesPerEU: 17
; NumVGPRsForWavesPerEU: 16
; AccumOffset: 16
; Occupancy: 8
; WaveLimiterHint : 0
; COMPUTE_PGM_RSRC2:SCRATCH_EN: 0
; COMPUTE_PGM_RSRC2:USER_SGPR: 6
; COMPUTE_PGM_RSRC2:TRAP_HANDLER: 0
; COMPUTE_PGM_RSRC2:TGID_X_EN: 1
; COMPUTE_PGM_RSRC2:TGID_Y_EN: 1
; COMPUTE_PGM_RSRC2:TGID_Z_EN: 0
; COMPUTE_PGM_RSRC2:TIDIG_COMP_CNT: 0
; COMPUTE_PGM_RSRC3_GFX90A:ACCUM_OFFSET: 3
; COMPUTE_PGM_RSRC3_GFX90A:TG_SPLIT: 0
	.section	.text._ZN9rocsolver6v33100L38stedc_mergePrepare_DeflateCount_kernelIfEEviiPT_lS3_Pi,"axG",@progbits,_ZN9rocsolver6v33100L38stedc_mergePrepare_DeflateCount_kernelIfEEviiPT_lS3_Pi,comdat
	.globl	_ZN9rocsolver6v33100L38stedc_mergePrepare_DeflateCount_kernelIfEEviiPT_lS3_Pi ; -- Begin function _ZN9rocsolver6v33100L38stedc_mergePrepare_DeflateCount_kernelIfEEviiPT_lS3_Pi
	.p2align	8
	.type	_ZN9rocsolver6v33100L38stedc_mergePrepare_DeflateCount_kernelIfEEviiPT_lS3_Pi,@function
_ZN9rocsolver6v33100L38stedc_mergePrepare_DeflateCount_kernelIfEEviiPT_lS3_Pi: ; @_ZN9rocsolver6v33100L38stedc_mergePrepare_DeflateCount_kernelIfEEviiPT_lS3_Pi
; %bb.0:
	s_load_dword s12, s[4:5], 0x4
	s_load_dwordx4 s[8:11], s[4:5], 0x18
	s_load_dword s2, s[4:5], 0x34
	s_waitcnt lgkmcnt(0)
	s_mul_i32 s20, s7, s12
	s_mul_i32 s0, s20, 13
	s_ashr_i32 s1, s0, 31
	s_lshl_b64 s[14:15], s[0:1], 2
	s_add_u32 s3, s10, s14
	s_mul_i32 s0, s12, 9
	s_addc_u32 s4, s11, s15
	s_ashr_i32 s1, s0, 31
	s_lshl_b64 s[16:17], s[0:1], 2
	s_add_u32 s24, s3, s16
	s_addc_u32 s25, s4, s17
	s_ashr_i32 s13, s12, 31
	s_lshl_b64 s[18:19], s[12:13], 3
	s_add_u32 s21, s24, s18
	s_addc_u32 s22, s25, s19
	s_and_b32 s26, s2, 0xffff
	s_mul_i32 s13, s6, s26
	v_add_u32_e32 v2, s13, v0
	v_add_u32_e32 v1, -1, v2
	v_cmp_lt_i32_e32 vcc, 0, v2
	v_cndmask_b32_e32 v4, 0, v1, vcc
	v_cmp_gt_i32_e32 vcc, s12, v4
	s_mov_b64 s[4:5], -1
	s_and_saveexec_b64 s[0:1], vcc
	s_cbranch_execz .LBB14_2
; %bb.1:
	v_ashrrev_i32_e32 v5, 31, v4
	v_lshlrev_b64 v[4:5], 2, v[4:5]
	v_mov_b32_e32 v1, s22
	v_add_co_u32_e32 v4, vcc, s21, v4
	v_addc_co_u32_e32 v5, vcc, v1, v5, vcc
	global_load_dword v1, v[4:5], off
	s_waitcnt vmcnt(0)
	v_and_b32_e32 v1, 1, v1
	v_cmp_eq_u32_e32 vcc, 0, v1
	s_orn2_b64 s[4:5], vcc, exec
.LBB14_2:
	s_or_b64 exec, exec, s[0:1]
	v_cmp_le_i32_e32 vcc, s12, v2
	v_cmp_gt_i32_e64 s[0:1], s12, v2
	s_mov_b64 s[2:3], 0
	v_ashrrev_i32_e32 v3, 31, v2
	s_and_saveexec_b64 s[6:7], s[0:1]
	s_cbranch_execz .LBB14_4
; %bb.3:
	v_lshlrev_b64 v[4:5], 2, v[2:3]
	v_mov_b32_e32 v1, s22
	v_add_co_u32_e64 v4, s[2:3], s21, v4
	v_addc_co_u32_e64 v5, s[2:3], v1, v5, s[2:3]
	global_load_dword v1, v[4:5], off
	s_waitcnt vmcnt(0)
	v_and_b32_e32 v1, 1, v1
	v_cmp_eq_u32_e64 s[2:3], 1, v1
	s_and_b64 s[2:3], s[2:3], exec
.LBB14_4:
	s_or_b64 exec, exec, s[6:7]
	s_mul_i32 s6, s20, 10
	s_ashr_i32 s7, s6, 31
	s_lshl_b64 s[6:7], s[6:7], 2
	s_add_u32 s22, s8, s6
	s_mul_i32 s20, s12, 6
	s_addc_u32 s23, s9, s7
	s_ashr_i32 s21, s20, 31
	s_lshl_b64 s[20:21], s[20:21], 2
	s_add_u32 s27, s22, s20
	s_addc_u32 s28, s23, s21
	v_mov_b32_e32 v7, 0
	s_and_saveexec_b64 s[22:23], s[0:1]
	s_cbranch_execz .LBB14_6
; %bb.5:
	v_lshlrev_b64 v[4:5], 2, v[2:3]
	v_mov_b32_e32 v1, s28
	v_add_co_u32_e64 v4, s[0:1], s27, v4
	v_addc_co_u32_e64 v5, s[0:1], v1, v5, s[0:1]
	global_load_dword v7, v[4:5], off
.LBB14_6:
	s_or_b64 exec, exec, s[22:23]
                                        ; implicit-def: $sgpr22
	s_and_saveexec_b64 s[0:1], vcc
	s_xor_b64 s[0:1], exec, s[0:1]
	s_cbranch_execz .LBB14_8
; %bb.7:
	s_mov_b32 s22, 0
	s_or_saveexec_b64 s[0:1], s[0:1]
	v_mov_b32_e32 v8, s22
	s_xor_b64 exec, exec, s[0:1]
	s_cbranch_execnz .LBB14_9
	s_branch .LBB14_10
.LBB14_8:
	s_or_saveexec_b64 s[0:1], s[0:1]
	v_mov_b32_e32 v8, s22
	s_xor_b64 exec, exec, s[0:1]
	s_cbranch_execz .LBB14_10
.LBB14_9:
	s_sub_u32 s22, s27, s18
	s_subb_u32 s23, s28, s19
	v_lshlrev_b64 v[4:5], 2, v[2:3]
	v_mov_b32_e32 v1, s23
	v_add_co_u32_e32 v4, vcc, s22, v4
	v_addc_co_u32_e32 v5, vcc, v1, v5, vcc
	global_load_dword v8, v[4:5], off
.LBB14_10:
	s_or_b64 exec, exec, s[0:1]
	s_lshl_b32 s22, s26, 2
	s_add_u32 s0, s18, s14
	s_addc_u32 s1, s19, s15
	s_add_u32 s16, s0, s16
	s_addc_u32 s17, s1, s17
	;; [unrolled: 2-line block ×3, first 2 shown]
	s_add_u32 s18, s6, s20
	v_lshlrev_b64 v[10:11], 2, v[2:3]
	s_addc_u32 s19, s7, s21
	v_mov_b32_e32 v4, s1
	v_add_co_u32_e32 v1, vcc, s0, v10
	s_add_u32 s0, s8, s18
	v_addc_co_u32_e32 v4, vcc, v4, v11, vcc
	s_addc_u32 s1, s9, s19
	v_lshlrev_b32_e32 v9, 2, v0
	v_mov_b32_e32 v6, s1
	v_add_co_u32_e32 v5, vcc, s0, v10
	v_addc_co_u32_e32 v6, vcc, v6, v11, vcc
	s_mov_b64 s[0:1], 0
	s_movk_i32 s20, 0xfff
	s_mov_b64 s[6:7], 0
	v_mov_b32_e32 v10, v9
	v_mov_b32_e32 v11, v0
	s_branch .LBB14_12
.LBB14_11:                              ;   in Loop: Header=BB14_12 Depth=1
	s_or_b64 exec, exec, s[14:15]
	v_add_u32_e32 v11, s26, v11
	s_add_u32 s6, s6, s22
	s_addc_u32 s7, s7, 0
	v_cmp_lt_u32_e32 vcc, s20, v11
	s_waitcnt vmcnt(0)
	ds_write2st64_b32 v10, v12, v13 offset1:64
	s_or_b64 s[0:1], vcc, s[0:1]
	v_add_u32_e32 v10, s22, v10
	s_andn2_b64 exec, exec, s[0:1]
	s_cbranch_execz .LBB14_14
.LBB14_12:                              ; =>This Inner Loop Header: Depth=1
	v_add_u32_e32 v12, s13, v11
	v_cmp_gt_i32_e32 vcc, s12, v12
	v_mov_b32_e32 v12, 0
	v_mov_b32_e32 v13, 0
	s_and_saveexec_b64 s[14:15], vcc
	s_cbranch_execz .LBB14_11
; %bb.13:                               ;   in Loop: Header=BB14_12 Depth=1
	v_mov_b32_e32 v15, s7
	v_add_co_u32_e32 v12, vcc, s6, v5
	v_addc_co_u32_e32 v13, vcc, v6, v15, vcc
	v_add_co_u32_e32 v14, vcc, s6, v1
	v_addc_co_u32_e32 v15, vcc, v4, v15, vcc
	global_load_dword v12, v[12:13], off
	s_nop 0
	global_load_dword v13, v[14:15], off
	s_branch .LBB14_11
.LBB14_14:
	s_or_b64 exec, exec, s[0:1]
	v_cmp_eq_u32_e32 vcc, 0, v2
	s_or_b64 s[0:1], vcc, s[4:5]
	s_and_b64 s[0:1], s[2:3], s[0:1]
	s_waitcnt lgkmcnt(0)
	s_barrier
	s_and_saveexec_b64 s[2:3], s[0:1]
	s_cbranch_execz .LBB14_22
; %bb.15:
	v_lshlrev_b32_e32 v1, 2, v0
	ds_read_b32 v1, v1 offset:16392
	v_add_u32_e32 v4, 2, v2
	v_cmp_gt_i32_e32 vcc, s12, v4
	s_waitcnt lgkmcnt(0)
	v_and_b32_e32 v1, 2, v1
	v_cmp_ne_u32_e64 s[0:1], 0, v1
	s_and_b64 s[0:1], vcc, s[0:1]
	s_and_saveexec_b64 s[2:3], s[0:1]
	s_cbranch_execz .LBB14_21
; %bb.16:
	v_ashrrev_i32_e32 v5, 31, v4
	s_add_u32 s0, s10, s16
	v_lshlrev_b64 v[10:11], 2, v[4:5]
	s_addc_u32 s1, s11, s17
	v_mov_b32_e32 v1, s1
	v_add_co_u32_e32 v3, vcc, s0, v10
	v_addc_co_u32_e32 v1, vcc, v1, v11, vcc
	v_add_co_u32_e32 v4, vcc, 4, v3
	s_add_u32 s0, s8, s18
	v_addc_co_u32_e32 v1, vcc, 0, v1, vcc
	s_addc_u32 s1, s9, s19
	v_mov_b32_e32 v3, s1
	v_add_co_u32_e32 v6, vcc, s0, v10
	s_mov_b64 s[0:1], src_shared_base
	v_addc_co_u32_e32 v5, vcc, v3, v11, vcc
	v_add_u32_e32 v9, 0x400c, v9
	s_mov_b64 s[4:5], 0
	s_movk_i32 s6, 0x1000
	v_mov_b32_e32 v10, s1
	s_branch .LBB14_18
.LBB14_17:                              ;   in Loop: Header=BB14_18 Depth=1
	s_or_b64 exec, exec, s[0:1]
	v_add_u32_e32 v3, 3, v0
	v_cmp_gt_i32_e32 vcc, s6, v3
	v_cndmask_b32_e32 v13, v1, v10, vcc
	v_cndmask_b32_e32 v12, v4, v9, vcc
	flat_load_dword v3, v[12:13]
	v_add_co_u32_e32 v6, vcc, 4, v6
	v_add_co_u32_e64 v4, s[0:1], 4, v4
	v_add_u32_e32 v11, 3, v11
	v_addc_co_u32_e32 v5, vcc, 0, v5, vcc
	v_addc_co_u32_e64 v1, s[0:1], 0, v1, s[0:1]
	v_cmp_le_i32_e32 vcc, s12, v11
	v_add_u32_e32 v0, 1, v0
	v_add_u32_e32 v9, 4, v9
	s_waitcnt vmcnt(0) lgkmcnt(0)
	v_and_b32_e32 v3, 2, v3
	v_cmp_eq_u32_e64 s[0:1], 0, v3
	s_or_b64 s[0:1], vcc, s[0:1]
	s_and_b64 s[0:1], exec, s[0:1]
	s_or_b64 s[4:5], s[0:1], s[4:5]
	s_andn2_b64 exec, exec, s[4:5]
	s_cbranch_execz .LBB14_20
.LBB14_18:                              ; =>This Inner Loop Header: Depth=1
	v_add_u32_e32 v3, 2, v0
	v_add_u32_e32 v11, 0xffffbffc, v9
	v_cmp_gt_i32_e32 vcc, s6, v3
	v_cndmask_b32_e32 v12, v6, v11, vcc
	v_cndmask_b32_e32 v13, v5, v10, vcc
	flat_load_dword v12, v[12:13]
	v_add_u32_e32 v11, s13, v0
	s_waitcnt vmcnt(0) lgkmcnt(0)
	v_sub_f32_e32 v3, v12, v7
	v_cmp_gt_f32_e32 vcc, v3, v8
	s_and_saveexec_b64 s[0:1], vcc
	s_cbranch_execz .LBB14_17
; %bb.19:                               ;   in Loop: Header=BB14_18 Depth=1
	v_ashrrev_i32_e32 v3, 31, v2
	v_lshlrev_b64 v[14:15], 2, v[2:3]
	v_mov_b32_e32 v3, s25
	v_add_co_u32_e32 v14, vcc, s24, v14
	v_sub_u32_e32 v2, v11, v2
	v_add_u32_e32 v13, 2, v11
	v_addc_co_u32_e32 v15, vcc, v3, v15, vcc
	v_add_u32_e32 v2, 1, v2
	global_store_dword v[14:15], v2, off
	v_mov_b32_e32 v7, v12
	v_mov_b32_e32 v2, v13
	s_branch .LBB14_17
.LBB14_20:
	s_or_b64 exec, exec, s[4:5]
	v_add3_u32 v4, s13, v0, 2
	v_ashrrev_i32_e32 v3, 31, v2
.LBB14_21:
	s_or_b64 exec, exec, s[2:3]
	v_lshlrev_b64 v[0:1], 2, v[2:3]
	v_xad_u32 v4, v2, -1, v4
	v_mov_b32_e32 v2, s25
	v_add_co_u32_e32 v0, vcc, s24, v0
	v_addc_co_u32_e32 v1, vcc, v2, v1, vcc
	global_store_dword v[0:1], v4, off
.LBB14_22:
	s_endpgm
	.section	.rodata,"a",@progbits
	.p2align	6, 0x0
	.amdhsa_kernel _ZN9rocsolver6v33100L38stedc_mergePrepare_DeflateCount_kernelIfEEviiPT_lS3_Pi
		.amdhsa_group_segment_fixed_size 32768
		.amdhsa_private_segment_fixed_size 0
		.amdhsa_kernarg_size 296
		.amdhsa_user_sgpr_count 6
		.amdhsa_user_sgpr_private_segment_buffer 1
		.amdhsa_user_sgpr_dispatch_ptr 0
		.amdhsa_user_sgpr_queue_ptr 0
		.amdhsa_user_sgpr_kernarg_segment_ptr 1
		.amdhsa_user_sgpr_dispatch_id 0
		.amdhsa_user_sgpr_flat_scratch_init 0
		.amdhsa_user_sgpr_kernarg_preload_length 0
		.amdhsa_user_sgpr_kernarg_preload_offset 0
		.amdhsa_user_sgpr_private_segment_size 0
		.amdhsa_uses_dynamic_stack 0
		.amdhsa_system_sgpr_private_segment_wavefront_offset 0
		.amdhsa_system_sgpr_workgroup_id_x 1
		.amdhsa_system_sgpr_workgroup_id_y 1
		.amdhsa_system_sgpr_workgroup_id_z 0
		.amdhsa_system_sgpr_workgroup_info 0
		.amdhsa_system_vgpr_workitem_id 0
		.amdhsa_next_free_vgpr 16
		.amdhsa_next_free_sgpr 29
		.amdhsa_accum_offset 16
		.amdhsa_reserve_vcc 1
		.amdhsa_reserve_flat_scratch 0
		.amdhsa_float_round_mode_32 0
		.amdhsa_float_round_mode_16_64 0
		.amdhsa_float_denorm_mode_32 3
		.amdhsa_float_denorm_mode_16_64 3
		.amdhsa_dx10_clamp 1
		.amdhsa_ieee_mode 1
		.amdhsa_fp16_overflow 0
		.amdhsa_tg_split 0
		.amdhsa_exception_fp_ieee_invalid_op 0
		.amdhsa_exception_fp_denorm_src 0
		.amdhsa_exception_fp_ieee_div_zero 0
		.amdhsa_exception_fp_ieee_overflow 0
		.amdhsa_exception_fp_ieee_underflow 0
		.amdhsa_exception_fp_ieee_inexact 0
		.amdhsa_exception_int_div_zero 0
	.end_amdhsa_kernel
	.section	.text._ZN9rocsolver6v33100L38stedc_mergePrepare_DeflateCount_kernelIfEEviiPT_lS3_Pi,"axG",@progbits,_ZN9rocsolver6v33100L38stedc_mergePrepare_DeflateCount_kernelIfEEviiPT_lS3_Pi,comdat
.Lfunc_end14:
	.size	_ZN9rocsolver6v33100L38stedc_mergePrepare_DeflateCount_kernelIfEEviiPT_lS3_Pi, .Lfunc_end14-_ZN9rocsolver6v33100L38stedc_mergePrepare_DeflateCount_kernelIfEEviiPT_lS3_Pi
                                        ; -- End function
	.section	.AMDGPU.csdata,"",@progbits
; Kernel info:
; codeLenInByte = 1120
; NumSgprs: 33
; NumVgprs: 16
; NumAgprs: 0
; TotalNumVgprs: 16
; ScratchSize: 0
; MemoryBound: 0
; FloatMode: 240
; IeeeMode: 1
; LDSByteSize: 32768 bytes/workgroup (compile time only)
; SGPRBlocks: 4
; VGPRBlocks: 1
; NumSGPRsForWavesPerEU: 33
; NumVGPRsForWavesPerEU: 16
; AccumOffset: 16
; Occupancy: 4
; WaveLimiterHint : 0
; COMPUTE_PGM_RSRC2:SCRATCH_EN: 0
; COMPUTE_PGM_RSRC2:USER_SGPR: 6
; COMPUTE_PGM_RSRC2:TRAP_HANDLER: 0
; COMPUTE_PGM_RSRC2:TGID_X_EN: 1
; COMPUTE_PGM_RSRC2:TGID_Y_EN: 1
; COMPUTE_PGM_RSRC2:TGID_Z_EN: 0
; COMPUTE_PGM_RSRC2:TIDIG_COMP_CNT: 0
; COMPUTE_PGM_RSRC3_GFX90A:ACCUM_OFFSET: 3
; COMPUTE_PGM_RSRC3_GFX90A:TG_SPLIT: 0
	.section	.text._ZN9rocsolver6v33100L38stedc_mergePrepare_DeflateApply_kernelIfEEviiPT_lS3_Pi,"axG",@progbits,_ZN9rocsolver6v33100L38stedc_mergePrepare_DeflateApply_kernelIfEEviiPT_lS3_Pi,comdat
	.globl	_ZN9rocsolver6v33100L38stedc_mergePrepare_DeflateApply_kernelIfEEviiPT_lS3_Pi ; -- Begin function _ZN9rocsolver6v33100L38stedc_mergePrepare_DeflateApply_kernelIfEEviiPT_lS3_Pi
	.p2align	8
	.type	_ZN9rocsolver6v33100L38stedc_mergePrepare_DeflateApply_kernelIfEEviiPT_lS3_Pi,@function
_ZN9rocsolver6v33100L38stedc_mergePrepare_DeflateApply_kernelIfEEviiPT_lS3_Pi: ; @_ZN9rocsolver6v33100L38stedc_mergePrepare_DeflateApply_kernelIfEEviiPT_lS3_Pi
; %bb.0:
	s_load_dword s8, s[4:5], 0x4
	s_load_dwordx4 s[0:3], s[4:5], 0x18
	s_load_dword s18, s[4:5], 0x34
                                        ; implicit-def: $sgpr20
	s_waitcnt lgkmcnt(0)
	s_mul_i32 s19, s7, s8
	s_mul_i32 s4, s19, 13
	s_ashr_i32 s5, s4, 31
	s_lshl_b64 s[10:11], s[4:5], 2
	s_add_u32 s7, s2, s10
	s_addc_u32 s9, s3, s11
	s_lshl_b32 s4, s8, 3
	s_ashr_i32 s5, s4, 31
	s_lshl_b64 s[12:13], s[4:5], 2
	s_add_u32 s16, s7, s12
	s_addc_u32 s21, s9, s13
	s_ashr_i32 s9, s8, 31
	s_lshl_b64 s[14:15], s[8:9], 3
	s_add_u32 s17, s16, s14
	s_addc_u32 s22, s21, s15
	s_and_b32 s23, s18, 0xffff
	s_mul_i32 s18, s6, s23
	v_add_u32_e32 v2, s18, v0
	v_cmp_le_i32_e32 vcc, s8, v2
	v_ashrrev_i32_e32 v3, 31, v2
	s_and_saveexec_b64 s[4:5], vcc
	s_xor_b64 s[4:5], exec, s[4:5]
; %bb.1:
	s_mov_b32 s20, 0
; %bb.2:
	s_or_saveexec_b64 s[6:7], s[4:5]
	s_lshl_b64 s[4:5], s[8:9], 2
	v_mov_b32_e32 v6, s20
	s_xor_b64 exec, exec, s[6:7]
	s_cbranch_execz .LBB15_4
; %bb.3:
	s_sub_u32 s9, s17, s4
	s_subb_u32 s20, s22, s5
	v_lshlrev_b64 v[4:5], 2, v[2:3]
	v_mov_b32_e32 v1, s20
	v_add_co_u32_e32 v4, vcc, s9, v4
	v_addc_co_u32_e32 v5, vcc, v1, v5, vcc
	global_load_dword v6, v[4:5], off
.LBB15_4:
	s_or_b64 exec, exec, s[6:7]
	s_mul_i32 s6, s19, 10
	s_ashr_i32 s7, s6, 31
	s_lshl_b64 s[6:7], s[6:7], 2
	s_add_u32 s19, s0, s6
	s_addc_u32 s20, s1, s7
	s_lshl_b32 s6, s23, 2
	s_add_u32 s0, s14, s10
	s_addc_u32 s1, s15, s11
	s_add_u32 s0, s0, s12
	s_addc_u32 s1, s1, s13
	s_add_u32 s0, s2, s0
	v_lshlrev_b64 v[2:3], 2, v[2:3]
	s_addc_u32 s1, s3, s1
	v_lshlrev_b32_e32 v1, 2, v0
	v_mov_b32_e32 v4, s1
	v_add_co_u32_e32 v2, vcc, s0, v2
	s_mov_b32 s2, 0
	v_addc_co_u32_e32 v3, vcc, v4, v3, vcc
	s_mov_b64 s[0:1], 0
	v_mov_b32_e32 v7, s2
	s_movk_i32 s7, 0xfff
	v_mov_b32_e32 v8, v1
	v_mov_b32_e32 v9, v0
	s_branch .LBB15_6
.LBB15_5:                               ;   in Loop: Header=BB15_6 Depth=1
	s_or_b64 exec, exec, s[2:3]
	v_add_u32_e32 v9, s23, v9
	v_cmp_lt_u32_e32 vcc, s7, v9
	s_or_b64 s[0:1], vcc, s[0:1]
	v_add_co_u32_e32 v2, vcc, s6, v2
	s_waitcnt vmcnt(0)
	ds_write2st64_b32 v8, v5, v4 offset1:64
	v_add_u32_e32 v8, s6, v8
	v_addc_co_u32_e32 v3, vcc, v3, v7, vcc
	s_andn2_b64 exec, exec, s[0:1]
	s_cbranch_execz .LBB15_8
.LBB15_6:                               ; =>This Inner Loop Header: Depth=1
	v_add_u32_e32 v4, s18, v9
	v_cmp_gt_i32_e32 vcc, s8, v4
	v_mov_b32_e32 v4, 0
	v_mov_b32_e32 v5, 0
	s_and_saveexec_b64 s[2:3], vcc
	s_cbranch_execz .LBB15_5
; %bb.7:                                ;   in Loop: Header=BB15_6 Depth=1
	global_load_dword v4, v[2:3], off
	v_mov_b32_e32 v12, s20
	s_waitcnt vmcnt(0)
	v_ashrrev_i32_e32 v5, 31, v4
	v_lshlrev_b64 v[10:11], 2, v[4:5]
	v_add_co_u32_e32 v10, vcc, s19, v10
	v_addc_co_u32_e32 v11, vcc, v12, v11, vcc
	global_load_dword v5, v[10:11], off
	s_branch .LBB15_5
.LBB15_8:
	s_or_b64 exec, exec, s[0:1]
	v_cmp_ne_u32_e32 vcc, 0, v6
	s_waitcnt lgkmcnt(0)
	s_barrier
	s_and_saveexec_b64 s[0:1], vcc
	s_cbranch_execz .LBB15_24
; %bb.9:
	v_lshlrev_b32_e32 v5, 2, v0
	ds_read_b32 v4, v5
	v_cmp_lt_i32_e32 vcc, 0, v6
	s_and_saveexec_b64 s[2:3], vcc
	s_cbranch_execz .LBB15_23
; %bb.10:
	s_lshl_b32 s0, s8, 1
	s_ashr_i32 s1, s0, 31
	s_lshl_b64 s[0:1], s[0:1], 2
	s_add_u32 s12, s19, s0
	s_addc_u32 s6, s20, s1
	s_add_u32 s13, s12, s4
	s_addc_u32 s7, s6, s5
	s_mov_b64 s[0:1], src_shared_base
	v_add_u32_e32 v7, 0x4004, v1
	v_add_u32_e32 v8, 1, v0
	s_mov_b64 s[4:5], 0
	s_movk_i32 s14, 0x1000
	v_mov_b32_e32 v9, s22
	v_mov_b32_e32 v10, s1
	;; [unrolled: 1-line block ×3, first 2 shown]
	s_mov_b32 s15, 0xf800000
	v_mov_b32_e32 v12, 0x260
	v_mov_b32_e32 v13, s21
	;; [unrolled: 1-line block ×5, first 2 shown]
	s_branch .LBB15_13
.LBB15_11:                              ;   in Loop: Header=BB15_13 Depth=1
	s_or_b64 exec, exec, s[0:1]
.LBB15_12:                              ;   in Loop: Header=BB15_13 Depth=1
	s_or_b64 exec, exec, s[6:7]
	v_add_co_u32_e32 v20, vcc, s16, v0
	v_addc_co_u32_e32 v21, vcc, v13, v1, vcc
	global_store_dword v[20:21], v14, off
	global_store_dword v[2:3], v14, off
	v_add_co_u32_e32 v2, vcc, s12, v0
	v_addc_co_u32_e32 v3, vcc, v15, v1, vcc
	v_add_co_u32_e32 v0, vcc, s13, v0
	v_addc_co_u32_e32 v1, vcc, v16, v1, vcc
	v_add_u32_e32 v6, -1, v6
	v_cmp_eq_u32_e32 vcc, 0, v6
	v_add_u32_e32 v7, 4, v7
	s_or_b64 s[4:5], vcc, s[4:5]
	v_add_u32_e32 v8, 1, v8
	global_store_dword v[2:3], v19, off
	global_store_dword v[0:1], v18, off
	s_andn2_b64 exec, exec, s[4:5]
	s_cbranch_execz .LBB15_22
.LBB15_13:                              ; =>This Inner Loop Header: Depth=1
	v_add_u32_e32 v0, s18, v8
	v_ashrrev_i32_e32 v1, 31, v0
	v_lshlrev_b64 v[0:1], 2, v[0:1]
	v_add_co_u32_e32 v0, vcc, s17, v0
	v_addc_co_u32_e32 v1, vcc, v9, v1, vcc
	v_cmp_gt_i32_e32 vcc, s14, v8
	v_cndmask_b32_e32 v1, v1, v10, vcc
	v_cndmask_b32_e32 v0, v0, v7, vcc
	flat_load_dword v0, v[0:1]
	v_add_u32_e32 v17, 0xffffc000, v7
	s_waitcnt vmcnt(0) lgkmcnt(0)
	v_ashrrev_i32_e32 v1, 31, v0
	v_lshlrev_b64 v[0:1], 2, v[0:1]
	v_add_co_u32_e64 v2, s[0:1], s19, v0
	v_addc_co_u32_e64 v3, s[0:1], v11, v1, s[0:1]
	v_cndmask_b32_e32 v19, v3, v10, vcc
	v_cndmask_b32_e32 v18, v2, v17, vcc
	flat_load_dword v17, v[18:19]
	v_mov_b32_e32 v18, 0
	v_mov_b32_e32 v19, 1.0
	s_waitcnt vmcnt(0) lgkmcnt(0)
	v_cmp_neq_f32_e32 vcc, 0, v17
	s_and_saveexec_b64 s[6:7], vcc
	s_cbranch_execz .LBB15_12
; %bb.14:                               ;   in Loop: Header=BB15_13 Depth=1
	v_cmp_neq_f32_e32 vcc, 0, v4
                                        ; implicit-def: $vgpr19
                                        ; implicit-def: $vgpr18
	s_and_saveexec_b64 s[0:1], vcc
	s_xor_b64 s[8:9], exec, s[0:1]
	s_cbranch_execz .LBB15_20
; %bb.15:                               ;   in Loop: Header=BB15_13 Depth=1
	v_cmp_ngt_f32_e64 s[0:1], |v17|, |v4|
                                        ; implicit-def: $vgpr19
                                        ; implicit-def: $vgpr18
	s_and_saveexec_b64 s[10:11], s[0:1]
	s_xor_b64 s[10:11], exec, s[10:11]
	s_cbranch_execz .LBB15_17
; %bb.16:                               ;   in Loop: Header=BB15_13 Depth=1
	v_div_scale_f32 v18, s[0:1], v4, v4, -v17
	v_rcp_f32_e32 v19, v18
	v_div_scale_f32 v20, vcc, -v17, v4, -v17
	v_fma_f32 v21, -v18, v19, 1.0
	v_fmac_f32_e32 v19, v21, v19
	v_mul_f32_e32 v21, v20, v19
	v_fma_f32 v22, -v18, v21, v20
	v_fmac_f32_e32 v21, v22, v19
	v_fma_f32 v18, -v18, v21, v20
	v_div_fmas_f32 v18, v18, v19, v21
	v_div_fixup_f32 v18, v18, v4, -v17
	v_fma_f32 v19, v18, v18, 1.0
	v_mul_f32_e32 v20, 0x4f800000, v19
	v_cmp_gt_f32_e32 vcc, s15, v19
	v_cndmask_b32_e32 v19, v19, v20, vcc
	v_sqrt_f32_e32 v20, v19
	v_add_u32_e32 v21, -1, v20
	v_fma_f32 v22, -v21, v20, v19
	v_cmp_ge_f32_e64 s[0:1], 0, v22
	v_add_u32_e32 v22, 1, v20
	v_cndmask_b32_e64 v21, v20, v21, s[0:1]
	v_fma_f32 v20, -v22, v20, v19
	v_cmp_lt_f32_e64 s[0:1], 0, v20
	v_cndmask_b32_e64 v20, v21, v22, s[0:1]
	v_mul_f32_e32 v21, 0x37800000, v20
	v_cndmask_b32_e32 v20, v20, v21, vcc
	v_cmp_class_f32_e32 vcc, v19, v12
	v_cndmask_b32_e32 v19, v20, v19, vcc
	v_div_scale_f32 v20, s[0:1], v19, v19, 1.0
	v_rcp_f32_e32 v21, v20
	v_fma_f32 v22, -v20, v21, 1.0
	v_fmac_f32_e32 v21, v22, v21
	v_div_scale_f32 v22, vcc, 1.0, v19, 1.0
	v_mul_f32_e32 v23, v22, v21
	v_fma_f32 v24, -v20, v23, v22
	v_fmac_f32_e32 v23, v24, v21
	v_fma_f32 v20, -v20, v23, v22
	v_div_fmas_f32 v20, v20, v21, v23
	v_div_fixup_f32 v19, v20, v19, 1.0
	v_mul_f32_e32 v18, v18, v19
.LBB15_17:                              ;   in Loop: Header=BB15_13 Depth=1
	s_andn2_saveexec_b64 s[10:11], s[10:11]
	s_cbranch_execz .LBB15_19
; %bb.18:                               ;   in Loop: Header=BB15_13 Depth=1
	v_div_scale_f32 v18, s[0:1], v17, v17, -v4
	v_rcp_f32_e32 v19, v18
	v_div_scale_f32 v20, vcc, -v4, v17, -v4
	v_fma_f32 v21, -v18, v19, 1.0
	v_fmac_f32_e32 v19, v21, v19
	v_mul_f32_e32 v21, v20, v19
	v_fma_f32 v22, -v18, v21, v20
	v_fmac_f32_e32 v21, v22, v19
	v_fma_f32 v18, -v18, v21, v20
	v_div_fmas_f32 v18, v18, v19, v21
	v_div_fixup_f32 v19, v18, v17, -v4
	v_fma_f32 v18, v19, v19, 1.0
	v_mul_f32_e32 v20, 0x4f800000, v18
	v_cmp_gt_f32_e32 vcc, s15, v18
	v_cndmask_b32_e32 v18, v18, v20, vcc
	v_sqrt_f32_e32 v20, v18
	v_add_u32_e32 v21, -1, v20
	v_fma_f32 v22, -v21, v20, v18
	v_cmp_ge_f32_e64 s[0:1], 0, v22
	v_add_u32_e32 v22, 1, v20
	v_cndmask_b32_e64 v21, v20, v21, s[0:1]
	v_fma_f32 v20, -v22, v20, v18
	v_cmp_lt_f32_e64 s[0:1], 0, v20
	v_cndmask_b32_e64 v20, v21, v22, s[0:1]
	v_mul_f32_e32 v21, 0x37800000, v20
	v_cndmask_b32_e32 v20, v20, v21, vcc
	v_cmp_class_f32_e32 vcc, v18, v12
	v_cndmask_b32_e32 v18, v20, v18, vcc
	v_div_scale_f32 v20, s[0:1], v18, v18, 1.0
	v_rcp_f32_e32 v21, v20
	v_fma_f32 v22, -v20, v21, 1.0
	v_fmac_f32_e32 v21, v22, v21
	v_div_scale_f32 v22, vcc, 1.0, v18, 1.0
	v_mul_f32_e32 v23, v22, v21
	v_fma_f32 v24, -v20, v23, v22
	v_fmac_f32_e32 v23, v24, v21
	v_fma_f32 v20, -v20, v23, v22
	v_div_fmas_f32 v20, v20, v21, v23
	v_div_fixup_f32 v18, v20, v18, 1.0
	v_mul_f32_e32 v19, v19, v18
.LBB15_19:                              ;   in Loop: Header=BB15_13 Depth=1
	s_or_b64 exec, exec, s[10:11]
	v_mul_f32_e32 v17, v17, v18
	v_fma_f32 v4, v4, v19, -v17
                                        ; implicit-def: $vgpr17
.LBB15_20:                              ;   in Loop: Header=BB15_13 Depth=1
	s_andn2_saveexec_b64 s[0:1], s[8:9]
	s_cbranch_execz .LBB15_11
; %bb.21:                               ;   in Loop: Header=BB15_13 Depth=1
	v_xor_b32_e32 v4, 0x80000000, v17
	v_mov_b32_e32 v19, 0
	v_mov_b32_e32 v18, 1.0
	s_branch .LBB15_11
.LBB15_22:
	s_or_b64 exec, exec, s[4:5]
.LBB15_23:
	s_or_b64 exec, exec, s[2:3]
	ds_read_b32 v0, v5 offset:16384
	v_mov_b32_e32 v2, s20
	s_waitcnt lgkmcnt(0)
	v_ashrrev_i32_e32 v1, 31, v0
	v_lshlrev_b64 v[0:1], 2, v[0:1]
	v_add_co_u32_e32 v0, vcc, s19, v0
	v_addc_co_u32_e32 v1, vcc, v2, v1, vcc
	global_store_dword v[0:1], v4, off
.LBB15_24:
	s_endpgm
	.section	.rodata,"a",@progbits
	.p2align	6, 0x0
	.amdhsa_kernel _ZN9rocsolver6v33100L38stedc_mergePrepare_DeflateApply_kernelIfEEviiPT_lS3_Pi
		.amdhsa_group_segment_fixed_size 32768
		.amdhsa_private_segment_fixed_size 0
		.amdhsa_kernarg_size 296
		.amdhsa_user_sgpr_count 6
		.amdhsa_user_sgpr_private_segment_buffer 1
		.amdhsa_user_sgpr_dispatch_ptr 0
		.amdhsa_user_sgpr_queue_ptr 0
		.amdhsa_user_sgpr_kernarg_segment_ptr 1
		.amdhsa_user_sgpr_dispatch_id 0
		.amdhsa_user_sgpr_flat_scratch_init 0
		.amdhsa_user_sgpr_kernarg_preload_length 0
		.amdhsa_user_sgpr_kernarg_preload_offset 0
		.amdhsa_user_sgpr_private_segment_size 0
		.amdhsa_uses_dynamic_stack 0
		.amdhsa_system_sgpr_private_segment_wavefront_offset 0
		.amdhsa_system_sgpr_workgroup_id_x 1
		.amdhsa_system_sgpr_workgroup_id_y 1
		.amdhsa_system_sgpr_workgroup_id_z 0
		.amdhsa_system_sgpr_workgroup_info 0
		.amdhsa_system_vgpr_workitem_id 0
		.amdhsa_next_free_vgpr 25
		.amdhsa_next_free_sgpr 24
		.amdhsa_accum_offset 28
		.amdhsa_reserve_vcc 1
		.amdhsa_reserve_flat_scratch 0
		.amdhsa_float_round_mode_32 0
		.amdhsa_float_round_mode_16_64 0
		.amdhsa_float_denorm_mode_32 3
		.amdhsa_float_denorm_mode_16_64 3
		.amdhsa_dx10_clamp 1
		.amdhsa_ieee_mode 1
		.amdhsa_fp16_overflow 0
		.amdhsa_tg_split 0
		.amdhsa_exception_fp_ieee_invalid_op 0
		.amdhsa_exception_fp_denorm_src 0
		.amdhsa_exception_fp_ieee_div_zero 0
		.amdhsa_exception_fp_ieee_overflow 0
		.amdhsa_exception_fp_ieee_underflow 0
		.amdhsa_exception_fp_ieee_inexact 0
		.amdhsa_exception_int_div_zero 0
	.end_amdhsa_kernel
	.section	.text._ZN9rocsolver6v33100L38stedc_mergePrepare_DeflateApply_kernelIfEEviiPT_lS3_Pi,"axG",@progbits,_ZN9rocsolver6v33100L38stedc_mergePrepare_DeflateApply_kernelIfEEviiPT_lS3_Pi,comdat
.Lfunc_end15:
	.size	_ZN9rocsolver6v33100L38stedc_mergePrepare_DeflateApply_kernelIfEEviiPT_lS3_Pi, .Lfunc_end15-_ZN9rocsolver6v33100L38stedc_mergePrepare_DeflateApply_kernelIfEEviiPT_lS3_Pi
                                        ; -- End function
	.section	.AMDGPU.csdata,"",@progbits
; Kernel info:
; codeLenInByte = 1416
; NumSgprs: 28
; NumVgprs: 25
; NumAgprs: 0
; TotalNumVgprs: 25
; ScratchSize: 0
; MemoryBound: 0
; FloatMode: 240
; IeeeMode: 1
; LDSByteSize: 32768 bytes/workgroup (compile time only)
; SGPRBlocks: 3
; VGPRBlocks: 3
; NumSGPRsForWavesPerEU: 28
; NumVGPRsForWavesPerEU: 25
; AccumOffset: 28
; Occupancy: 4
; WaveLimiterHint : 1
; COMPUTE_PGM_RSRC2:SCRATCH_EN: 0
; COMPUTE_PGM_RSRC2:USER_SGPR: 6
; COMPUTE_PGM_RSRC2:TRAP_HANDLER: 0
; COMPUTE_PGM_RSRC2:TGID_X_EN: 1
; COMPUTE_PGM_RSRC2:TGID_Y_EN: 1
; COMPUTE_PGM_RSRC2:TGID_Z_EN: 0
; COMPUTE_PGM_RSRC2:TIDIG_COMP_CNT: 0
; COMPUTE_PGM_RSRC3_GFX90A:ACCUM_OFFSET: 6
; COMPUTE_PGM_RSRC3_GFX90A:TG_SPLIT: 0
	.section	.text._ZN9rocsolver6v33100L24stedc_mergeRotate_kernelIfEEviiPT_iilS3_Pi,"axG",@progbits,_ZN9rocsolver6v33100L24stedc_mergeRotate_kernelIfEEviiPT_iilS3_Pi,comdat
	.globl	_ZN9rocsolver6v33100L24stedc_mergeRotate_kernelIfEEviiPT_iilS3_Pi ; -- Begin function _ZN9rocsolver6v33100L24stedc_mergeRotate_kernelIfEEviiPT_iilS3_Pi
	.p2align	8
	.type	_ZN9rocsolver6v33100L24stedc_mergeRotate_kernelIfEEviiPT_iilS3_Pi,@function
_ZN9rocsolver6v33100L24stedc_mergeRotate_kernelIfEEviiPT_iilS3_Pi: ; @_ZN9rocsolver6v33100L24stedc_mergeRotate_kernelIfEEviiPT_iilS3_Pi
; %bb.0:
	s_load_dword s34, s[4:5], 0x4
	s_load_dwordx2 s[2:3], s[4:5], 0x28
	s_load_dword s1, s[4:5], 0x3c
	s_mov_b32 s0, s6
	s_waitcnt lgkmcnt(0)
	s_mul_i32 s6, s7, s34
	s_mul_i32 s8, s6, 13
	s_ashr_i32 s9, s8, 31
	s_ashr_i32 s35, s34, 31
	s_lshl_b64 s[8:9], s[8:9], 2
	s_add_u32 s6, s2, s8
	s_mul_i32 s8, s34, 10
	s_addc_u32 s10, s3, s9
	s_ashr_i32 s9, s8, 31
	s_lshl_b64 s[2:3], s[8:9], 2
	s_add_u32 s6, s6, s2
	s_addc_u32 s9, s10, s3
	s_lshl_b64 s[2:3], s[34:35], 2
	s_sub_u32 s10, s6, s2
	s_subb_u32 s11, s9, s3
	s_and_b32 s33, s1, 0xffff
	s_lshl_b32 s35, s33, 4
	v_cvt_f32_u32_e32 v1, s35
	s_ashr_i32 s1, s0, 31
	s_lshl_b64 s[0:1], s[0:1], 2
	s_add_u32 s10, s10, s0
	v_rcp_iflag_f32_e32 v1, v1
	s_addc_u32 s11, s11, s1
	s_load_dword s46, s[10:11], 0x0
	v_mul_f32_e32 v1, 0x4f7ffffe, v1
	v_cvt_u32_f32_e32 v1, v1
	s_waitcnt lgkmcnt(0)
	s_cmp_eq_u32 s46, 0
	v_readfirstlane_b32 s10, v1
	s_cbranch_scc1 .LBB16_136
; %bb.1:
	s_sub_i32 s13, 0, s35
	s_mul_i32 s13, s13, s10
	s_add_i32 s11, s34, -1
	s_mul_hi_u32 s13, s10, s13
	s_ashr_i32 s12, s11, 31
	s_abs_i32 s11, s11
	s_add_i32 s10, s10, s13
	s_mul_hi_u32 s10, s11, s10
	s_mul_i32 s13, s10, s35
	s_sub_i32 s11, s11, s13
	s_add_i32 s13, s10, 1
	s_sub_i32 s14, s11, s35
	s_cmp_ge_u32 s11, s35
	s_cselect_b32 s10, s13, s10
	s_cselect_b32 s11, s14, s11
	s_add_i32 s13, s10, 1
	s_cmp_ge_u32 s11, s35
	s_cselect_b32 s10, s13, s10
	s_xor_b32 s10, s10, s12
	s_sub_i32 s47, s10, s12
	s_cmp_lt_i32 s47, 0
	s_cbranch_scc1 .LBB16_136
; %bb.2:
	s_load_dwordx8 s[36:43], s[4:5], 0x8
	s_ashr_i32 s10, s7, 31
	s_mov_b32 s55, 0
	v_mov_b32_e32 v1, 0
                                        ; implicit-def: $vgpr18_vgpr19_vgpr20_vgpr21_vgpr22_vgpr23_vgpr24_vgpr25_vgpr26_vgpr27_vgpr28_vgpr29_vgpr30_vgpr31_vgpr32_vgpr33
                                        ; implicit-def: $vgpr2_vgpr3_vgpr4_vgpr5_vgpr6_vgpr7_vgpr8_vgpr9_vgpr10_vgpr11_vgpr12_vgpr13_vgpr14_vgpr15_vgpr16_vgpr17
	s_waitcnt lgkmcnt(0)
	s_mul_i32 s11, s7, s41
	s_mul_hi_u32 s12, s7, s40
	s_add_i32 s11, s12, s11
	s_mul_i32 s10, s10, s40
	s_add_i32 s11, s11, s10
	s_mul_i32 s10, s7, s40
	s_ashr_i32 s5, s38, 31
	s_lshl_b64 s[10:11], s[10:11], 2
	s_mov_b32 s4, s38
	s_add_u32 s10, s36, s10
	s_addc_u32 s11, s37, s11
	s_lshl_b64 s[4:5], s[4:5], 2
	s_add_u32 s38, s10, s4
	s_addc_u32 s48, s11, s5
	s_add_u32 s0, s6, s0
	s_addc_u32 s1, s9, s1
	s_load_dword s5, s[0:1], 0x0
	s_mul_i32 s4, s8, s7
	s_waitcnt lgkmcnt(0)
	s_mul_i32 s6, s5, s39
	s_ashr_i32 s7, s6, 31
	s_lshl_b64 s[6:7], s[6:7], 2
	s_add_u32 s49, s38, s6
	s_addc_u32 s50, s48, s7
	s_ashr_i32 s5, s4, 31
	s_lshl_b64 s[4:5], s[4:5], 2
	s_add_u32 s6, s42, s4
	s_addc_u32 s7, s43, s5
	s_lshl_b32 s4, s34, 1
	s_ashr_i32 s5, s4, 31
	s_lshl_b64 s[4:5], s[4:5], 2
	s_add_u32 s51, s6, s4
	s_addc_u32 s52, s7, s5
	s_add_u32 s53, s51, s2
	s_addc_u32 s54, s52, s3
	s_cmp_gt_i32 s46, 0
	s_cselect_b64 s[36:37], -1, 0
	s_add_u32 s40, s0, 4
	s_addc_u32 s41, s1, 0
	s_branch .LBB16_4
.LBB16_3:                               ;   in Loop: Header=BB16_4 Depth=1
	s_or_b64 exec, exec, s[0:1]
	s_add_i32 s0, s55, 1
	s_cmp_lg_u32 s55, s47
	s_mov_b32 s55, s0
	s_cbranch_scc0 .LBB16_136
.LBB16_4:                               ; =>This Loop Header: Depth=1
                                        ;     Child Loop BB16_39 Depth 2
	s_mul_i32 s0, s55, s35
	v_add_u32_e32 v50, s0, v0
	v_cmp_gt_i32_e64 s[0:1], s34, v50
	v_ashrrev_i32_e32 v51, 31, v50
	s_and_saveexec_b64 s[2:3], s[0:1]
	s_cbranch_execz .LBB16_6
; %bb.5:                                ;   in Loop: Header=BB16_4 Depth=1
	v_lshlrev_b64 v[34:35], 2, v[50:51]
	s_waitcnt vmcnt(0)
	v_mov_b32_e32 v2, s50
	v_add_co_u32_e32 v34, vcc, s49, v34
	v_addc_co_u32_e32 v35, vcc, v2, v35, vcc
	global_load_dword v2, v[34:35], off
.LBB16_6:                               ;   in Loop: Header=BB16_4 Depth=1
	s_or_b64 exec, exec, s[2:3]
	v_add_u32_e32 v52, s33, v50
	v_cmp_gt_i32_e64 s[2:3], s34, v52
	v_ashrrev_i32_e32 v53, 31, v52
	s_and_saveexec_b64 s[4:5], s[2:3]
	s_cbranch_execz .LBB16_8
; %bb.7:                                ;   in Loop: Header=BB16_4 Depth=1
	v_lshlrev_b64 v[34:35], 2, v[52:53]
	s_waitcnt vmcnt(0)
	v_mov_b32_e32 v3, s50
	v_add_co_u32_e32 v34, vcc, s49, v34
	v_addc_co_u32_e32 v35, vcc, v3, v35, vcc
	global_load_dword v3, v[34:35], off
.LBB16_8:                               ;   in Loop: Header=BB16_4 Depth=1
	s_or_b64 exec, exec, s[4:5]
	v_add_u32_e32 v54, s33, v52
	v_cmp_gt_i32_e64 s[4:5], s34, v54
	v_ashrrev_i32_e32 v55, 31, v54
	s_and_saveexec_b64 s[6:7], s[4:5]
	s_cbranch_execz .LBB16_10
; %bb.9:                                ;   in Loop: Header=BB16_4 Depth=1
	v_lshlrev_b64 v[34:35], 2, v[54:55]
	s_waitcnt vmcnt(0)
	v_mov_b32_e32 v4, s50
	v_add_co_u32_e32 v34, vcc, s49, v34
	v_addc_co_u32_e32 v35, vcc, v4, v35, vcc
	global_load_dword v4, v[34:35], off
.LBB16_10:                              ;   in Loop: Header=BB16_4 Depth=1
	s_or_b64 exec, exec, s[6:7]
	v_add_u32_e32 v56, s33, v54
	v_cmp_gt_i32_e64 s[6:7], s34, v56
	v_ashrrev_i32_e32 v57, 31, v56
	s_and_saveexec_b64 s[8:9], s[6:7]
	s_cbranch_execz .LBB16_12
; %bb.11:                               ;   in Loop: Header=BB16_4 Depth=1
	v_lshlrev_b64 v[34:35], 2, v[56:57]
	s_waitcnt vmcnt(0)
	v_mov_b32_e32 v5, s50
	v_add_co_u32_e32 v34, vcc, s49, v34
	v_addc_co_u32_e32 v35, vcc, v5, v35, vcc
	global_load_dword v5, v[34:35], off
.LBB16_12:                              ;   in Loop: Header=BB16_4 Depth=1
	s_or_b64 exec, exec, s[8:9]
	v_add_u32_e32 v58, s33, v56
	v_cmp_gt_i32_e64 s[8:9], s34, v58
	v_ashrrev_i32_e32 v59, 31, v58
	s_and_saveexec_b64 s[10:11], s[8:9]
	s_cbranch_execz .LBB16_14
; %bb.13:                               ;   in Loop: Header=BB16_4 Depth=1
	v_lshlrev_b64 v[34:35], 2, v[58:59]
	s_waitcnt vmcnt(0)
	v_mov_b32_e32 v6, s50
	v_add_co_u32_e32 v34, vcc, s49, v34
	v_addc_co_u32_e32 v35, vcc, v6, v35, vcc
	global_load_dword v6, v[34:35], off
.LBB16_14:                              ;   in Loop: Header=BB16_4 Depth=1
	;; [unrolled: 14-line block ×13, first 2 shown]
	s_or_b64 exec, exec, s[42:43]
	s_and_b64 vcc, exec, s[36:37]
	s_cbranch_vccz .LBB16_104
; %bb.37:                               ;   in Loop: Header=BB16_4 Depth=1
	v_lshlrev_b64 v[82:83], 2, v[50:51]
	v_lshlrev_b64 v[84:85], 2, v[52:53]
	;; [unrolled: 1-line block ×14, first 2 shown]
	s_mov_b32 s56, s46
	s_mov_b64 s[42:43], s[40:41]
	v_lshlrev_b64 v[110:111], 2, v[78:79]
	v_lshlrev_b64 v[112:113], 2, v[80:81]
	s_branch .LBB16_39
.LBB16_38:                              ;   in Loop: Header=BB16_39 Depth=2
	s_or_b64 exec, exec, s[44:45]
	v_mul_f32_e32 v18, v115, v18
	v_fma_f32 v2, v114, v2, -v18
	v_mul_f32_e32 v18, v115, v19
	v_fma_f32 v3, v114, v3, -v18
	;; [unrolled: 2-line block ×15, first 2 shown]
	v_mul_f32_e32 v18, v115, v33
	s_add_u32 s42, s42, 4
	v_fma_f32 v17, v114, v17, -v18
	s_addc_u32 s43, s43, 0
	s_add_i32 s56, s56, -1
	v_pk_mov_b32 v[18:19], v[34:35], v[34:35] op_sel:[0,1]
	s_cmp_eq_u32 s56, 0
	v_pk_mov_b32 v[20:21], v[36:37], v[36:37] op_sel:[0,1]
	v_pk_mov_b32 v[22:23], v[38:39], v[38:39] op_sel:[0,1]
	;; [unrolled: 1-line block ×7, first 2 shown]
	s_barrier
	s_cbranch_scc1 .LBB16_103
.LBB16_39:                              ;   Parent Loop BB16_4 Depth=1
                                        ; =>  This Inner Loop Header: Depth=2
	global_load_dword v34, v1, s[42:43]
	v_mov_b32_e32 v39, s52
	v_mov_b32_e32 v40, s54
	s_waitcnt vmcnt(0)
	v_ashrrev_i32_e32 v35, 31, v34
	v_lshlrev_b64 v[36:37], 2, v[34:35]
	v_add_co_u32_e32 v38, vcc, s51, v36
	v_addc_co_u32_e32 v39, vcc, v39, v37, vcc
	v_add_co_u32_e32 v36, vcc, s53, v36
	v_addc_co_u32_e32 v37, vcc, v40, v37, vcc
	global_load_dword v114, v[38:39], off
	global_load_dword v115, v[36:37], off
	v_readfirstlane_b32 s44, v34
	s_mul_i32 s44, s44, s39
	s_ashr_i32 s45, s44, 31
	s_lshl_b64 s[44:45], s[44:45], 2
	s_add_u32 s57, s38, s44
	s_addc_u32 s58, s48, s45
	s_and_saveexec_b64 s[44:45], s[0:1]
	s_cbranch_execnz .LBB16_88
; %bb.40:                               ;   in Loop: Header=BB16_39 Depth=2
	s_or_b64 exec, exec, s[44:45]
	s_and_saveexec_b64 s[44:45], s[2:3]
	s_cbranch_execnz .LBB16_89
.LBB16_41:                              ;   in Loop: Header=BB16_39 Depth=2
	s_or_b64 exec, exec, s[44:45]
	s_and_saveexec_b64 s[44:45], s[4:5]
	s_cbranch_execnz .LBB16_90
.LBB16_42:                              ;   in Loop: Header=BB16_39 Depth=2
	s_or_b64 exec, exec, s[44:45]
	s_and_saveexec_b64 s[44:45], s[6:7]
	s_cbranch_execnz .LBB16_91
.LBB16_43:                              ;   in Loop: Header=BB16_39 Depth=2
	s_or_b64 exec, exec, s[44:45]
	s_and_saveexec_b64 s[44:45], s[8:9]
	s_cbranch_execnz .LBB16_92
.LBB16_44:                              ;   in Loop: Header=BB16_39 Depth=2
	s_or_b64 exec, exec, s[44:45]
	s_and_saveexec_b64 s[44:45], s[10:11]
	s_cbranch_execnz .LBB16_93
.LBB16_45:                              ;   in Loop: Header=BB16_39 Depth=2
	s_or_b64 exec, exec, s[44:45]
	s_and_saveexec_b64 s[44:45], s[12:13]
	s_cbranch_execnz .LBB16_94
.LBB16_46:                              ;   in Loop: Header=BB16_39 Depth=2
	s_or_b64 exec, exec, s[44:45]
	s_and_saveexec_b64 s[44:45], s[14:15]
	s_cbranch_execnz .LBB16_95
.LBB16_47:                              ;   in Loop: Header=BB16_39 Depth=2
	s_or_b64 exec, exec, s[44:45]
	s_and_saveexec_b64 s[44:45], s[16:17]
	s_cbranch_execnz .LBB16_96
.LBB16_48:                              ;   in Loop: Header=BB16_39 Depth=2
	s_or_b64 exec, exec, s[44:45]
	s_and_saveexec_b64 s[44:45], s[18:19]
	s_cbranch_execnz .LBB16_97
.LBB16_49:                              ;   in Loop: Header=BB16_39 Depth=2
	s_or_b64 exec, exec, s[44:45]
	s_and_saveexec_b64 s[44:45], s[20:21]
	s_cbranch_execnz .LBB16_98
.LBB16_50:                              ;   in Loop: Header=BB16_39 Depth=2
	s_or_b64 exec, exec, s[44:45]
	s_and_saveexec_b64 s[44:45], s[22:23]
	s_cbranch_execnz .LBB16_99
.LBB16_51:                              ;   in Loop: Header=BB16_39 Depth=2
	s_or_b64 exec, exec, s[44:45]
	s_and_saveexec_b64 s[44:45], s[24:25]
	s_cbranch_execnz .LBB16_100
.LBB16_52:                              ;   in Loop: Header=BB16_39 Depth=2
	s_or_b64 exec, exec, s[44:45]
	s_and_saveexec_b64 s[44:45], s[26:27]
	s_cbranch_execnz .LBB16_101
.LBB16_53:                              ;   in Loop: Header=BB16_39 Depth=2
	s_or_b64 exec, exec, s[44:45]
	s_and_saveexec_b64 s[44:45], s[28:29]
	s_cbranch_execnz .LBB16_102
.LBB16_54:                              ;   in Loop: Header=BB16_39 Depth=2
	s_or_b64 exec, exec, s[44:45]
	s_and_saveexec_b64 s[44:45], s[30:31]
	s_cbranch_execz .LBB16_56
.LBB16_55:                              ;   in Loop: Header=BB16_39 Depth=2
	v_mov_b32_e32 v33, s58
	v_add_co_u32_e32 v34, vcc, s57, v112
	v_addc_co_u32_e32 v35, vcc, v33, v113, vcc
	global_load_dword v33, v[34:35], off
.LBB16_56:                              ;   in Loop: Header=BB16_39 Depth=2
	s_or_b64 exec, exec, s[44:45]
	s_waitcnt vmcnt(0)
	v_mul_f32_e32 v34, v114, v18
	v_fmac_f32_e32 v34, v115, v2
	s_and_saveexec_b64 s[44:45], s[0:1]
	s_cbranch_execz .LBB16_58
; %bb.57:                               ;   in Loop: Header=BB16_39 Depth=2
	v_mov_b32_e32 v35, s58
	v_add_co_u32_e32 v36, vcc, s57, v82
	v_addc_co_u32_e32 v37, vcc, v35, v83, vcc
	global_store_dword v[36:37], v34, off
.LBB16_58:                              ;   in Loop: Header=BB16_39 Depth=2
	s_or_b64 exec, exec, s[44:45]
	v_mul_f32_e32 v35, v114, v19
	v_fmac_f32_e32 v35, v115, v3
	s_and_saveexec_b64 s[44:45], s[2:3]
	s_cbranch_execz .LBB16_60
; %bb.59:                               ;   in Loop: Header=BB16_39 Depth=2
	v_mov_b32_e32 v37, s58
	v_add_co_u32_e32 v36, vcc, s57, v84
	v_addc_co_u32_e32 v37, vcc, v37, v85, vcc
	global_store_dword v[36:37], v35, off
.LBB16_60:                              ;   in Loop: Header=BB16_39 Depth=2
	s_or_b64 exec, exec, s[44:45]
	;; [unrolled: 11-line block ×15, first 2 shown]
	v_mul_f32_e32 v49, v114, v33
	v_fmac_f32_e32 v49, v115, v17
	s_and_saveexec_b64 s[44:45], s[30:31]
	s_cbranch_execz .LBB16_38
; %bb.87:                               ;   in Loop: Header=BB16_39 Depth=2
	v_mov_b32_e32 v117, s58
	v_add_co_u32_e32 v116, vcc, s57, v112
	v_addc_co_u32_e32 v117, vcc, v117, v113, vcc
	global_store_dword v[116:117], v49, off
	s_branch .LBB16_38
.LBB16_88:                              ;   in Loop: Header=BB16_39 Depth=2
	v_mov_b32_e32 v18, s58
	v_add_co_u32_e32 v34, vcc, s57, v82
	v_addc_co_u32_e32 v35, vcc, v18, v83, vcc
	global_load_dword v18, v[34:35], off
	s_or_b64 exec, exec, s[44:45]
	s_and_saveexec_b64 s[44:45], s[2:3]
	s_cbranch_execz .LBB16_41
.LBB16_89:                              ;   in Loop: Header=BB16_39 Depth=2
	v_mov_b32_e32 v19, s58
	v_add_co_u32_e32 v34, vcc, s57, v84
	v_addc_co_u32_e32 v35, vcc, v19, v85, vcc
	global_load_dword v19, v[34:35], off
	s_or_b64 exec, exec, s[44:45]
	s_and_saveexec_b64 s[44:45], s[4:5]
	s_cbranch_execz .LBB16_42
.LBB16_90:                              ;   in Loop: Header=BB16_39 Depth=2
	v_mov_b32_e32 v20, s58
	v_add_co_u32_e32 v34, vcc, s57, v86
	v_addc_co_u32_e32 v35, vcc, v20, v87, vcc
	global_load_dword v20, v[34:35], off
	s_or_b64 exec, exec, s[44:45]
	s_and_saveexec_b64 s[44:45], s[6:7]
	s_cbranch_execz .LBB16_43
.LBB16_91:                              ;   in Loop: Header=BB16_39 Depth=2
	v_mov_b32_e32 v21, s58
	v_add_co_u32_e32 v34, vcc, s57, v88
	v_addc_co_u32_e32 v35, vcc, v21, v89, vcc
	global_load_dword v21, v[34:35], off
	s_or_b64 exec, exec, s[44:45]
	s_and_saveexec_b64 s[44:45], s[8:9]
	s_cbranch_execz .LBB16_44
.LBB16_92:                              ;   in Loop: Header=BB16_39 Depth=2
	v_mov_b32_e32 v22, s58
	v_add_co_u32_e32 v34, vcc, s57, v90
	v_addc_co_u32_e32 v35, vcc, v22, v91, vcc
	global_load_dword v22, v[34:35], off
	s_or_b64 exec, exec, s[44:45]
	s_and_saveexec_b64 s[44:45], s[10:11]
	s_cbranch_execz .LBB16_45
.LBB16_93:                              ;   in Loop: Header=BB16_39 Depth=2
	v_mov_b32_e32 v23, s58
	v_add_co_u32_e32 v34, vcc, s57, v92
	v_addc_co_u32_e32 v35, vcc, v23, v93, vcc
	global_load_dword v23, v[34:35], off
	s_or_b64 exec, exec, s[44:45]
	s_and_saveexec_b64 s[44:45], s[12:13]
	s_cbranch_execz .LBB16_46
.LBB16_94:                              ;   in Loop: Header=BB16_39 Depth=2
	v_mov_b32_e32 v24, s58
	v_add_co_u32_e32 v34, vcc, s57, v94
	v_addc_co_u32_e32 v35, vcc, v24, v95, vcc
	global_load_dword v24, v[34:35], off
	s_or_b64 exec, exec, s[44:45]
	s_and_saveexec_b64 s[44:45], s[14:15]
	s_cbranch_execz .LBB16_47
.LBB16_95:                              ;   in Loop: Header=BB16_39 Depth=2
	v_mov_b32_e32 v25, s58
	v_add_co_u32_e32 v34, vcc, s57, v96
	v_addc_co_u32_e32 v35, vcc, v25, v97, vcc
	global_load_dword v25, v[34:35], off
	s_or_b64 exec, exec, s[44:45]
	s_and_saveexec_b64 s[44:45], s[16:17]
	s_cbranch_execz .LBB16_48
.LBB16_96:                              ;   in Loop: Header=BB16_39 Depth=2
	v_mov_b32_e32 v26, s58
	v_add_co_u32_e32 v34, vcc, s57, v98
	v_addc_co_u32_e32 v35, vcc, v26, v99, vcc
	global_load_dword v26, v[34:35], off
	s_or_b64 exec, exec, s[44:45]
	s_and_saveexec_b64 s[44:45], s[18:19]
	s_cbranch_execz .LBB16_49
.LBB16_97:                              ;   in Loop: Header=BB16_39 Depth=2
	v_mov_b32_e32 v27, s58
	v_add_co_u32_e32 v34, vcc, s57, v100
	v_addc_co_u32_e32 v35, vcc, v27, v101, vcc
	global_load_dword v27, v[34:35], off
	s_or_b64 exec, exec, s[44:45]
	s_and_saveexec_b64 s[44:45], s[20:21]
	s_cbranch_execz .LBB16_50
.LBB16_98:                              ;   in Loop: Header=BB16_39 Depth=2
	v_mov_b32_e32 v28, s58
	v_add_co_u32_e32 v34, vcc, s57, v102
	v_addc_co_u32_e32 v35, vcc, v28, v103, vcc
	global_load_dword v28, v[34:35], off
	s_or_b64 exec, exec, s[44:45]
	s_and_saveexec_b64 s[44:45], s[22:23]
	s_cbranch_execz .LBB16_51
.LBB16_99:                              ;   in Loop: Header=BB16_39 Depth=2
	v_mov_b32_e32 v29, s58
	v_add_co_u32_e32 v34, vcc, s57, v104
	v_addc_co_u32_e32 v35, vcc, v29, v105, vcc
	global_load_dword v29, v[34:35], off
	s_or_b64 exec, exec, s[44:45]
	s_and_saveexec_b64 s[44:45], s[24:25]
	s_cbranch_execz .LBB16_52
.LBB16_100:                             ;   in Loop: Header=BB16_39 Depth=2
	v_mov_b32_e32 v30, s58
	v_add_co_u32_e32 v34, vcc, s57, v106
	v_addc_co_u32_e32 v35, vcc, v30, v107, vcc
	global_load_dword v30, v[34:35], off
	s_or_b64 exec, exec, s[44:45]
	s_and_saveexec_b64 s[44:45], s[26:27]
	s_cbranch_execz .LBB16_53
.LBB16_101:                             ;   in Loop: Header=BB16_39 Depth=2
	v_mov_b32_e32 v31, s58
	v_add_co_u32_e32 v34, vcc, s57, v108
	v_addc_co_u32_e32 v35, vcc, v31, v109, vcc
	global_load_dword v31, v[34:35], off
	s_or_b64 exec, exec, s[44:45]
	s_and_saveexec_b64 s[44:45], s[28:29]
	s_cbranch_execz .LBB16_54
.LBB16_102:                             ;   in Loop: Header=BB16_39 Depth=2
	v_mov_b32_e32 v32, s58
	v_add_co_u32_e32 v34, vcc, s57, v110
	v_addc_co_u32_e32 v35, vcc, v32, v111, vcc
	global_load_dword v32, v[34:35], off
	s_or_b64 exec, exec, s[44:45]
	s_and_saveexec_b64 s[44:45], s[30:31]
	s_cbranch_execnz .LBB16_55
	s_branch .LBB16_56
.LBB16_103:                             ;   in Loop: Header=BB16_4 Depth=1
	v_pk_mov_b32 v[18:19], v[34:35], v[34:35] op_sel:[0,1]
	v_pk_mov_b32 v[20:21], v[36:37], v[36:37] op_sel:[0,1]
	;; [unrolled: 1-line block ×8, first 2 shown]
.LBB16_104:                             ;   in Loop: Header=BB16_4 Depth=1
	s_and_saveexec_b64 s[42:43], s[0:1]
	s_cbranch_execnz .LBB16_120
; %bb.105:                              ;   in Loop: Header=BB16_4 Depth=1
	s_or_b64 exec, exec, s[42:43]
	s_and_saveexec_b64 s[0:1], s[2:3]
	s_cbranch_execnz .LBB16_121
.LBB16_106:                             ;   in Loop: Header=BB16_4 Depth=1
	s_or_b64 exec, exec, s[0:1]
	s_and_saveexec_b64 s[0:1], s[4:5]
	s_cbranch_execnz .LBB16_122
.LBB16_107:                             ;   in Loop: Header=BB16_4 Depth=1
	s_or_b64 exec, exec, s[0:1]
	s_and_saveexec_b64 s[0:1], s[6:7]
	s_cbranch_execnz .LBB16_123
.LBB16_108:                             ;   in Loop: Header=BB16_4 Depth=1
	s_or_b64 exec, exec, s[0:1]
	s_and_saveexec_b64 s[0:1], s[8:9]
	s_cbranch_execnz .LBB16_124
.LBB16_109:                             ;   in Loop: Header=BB16_4 Depth=1
	s_or_b64 exec, exec, s[0:1]
	s_and_saveexec_b64 s[0:1], s[10:11]
	s_cbranch_execnz .LBB16_125
.LBB16_110:                             ;   in Loop: Header=BB16_4 Depth=1
	s_or_b64 exec, exec, s[0:1]
	s_and_saveexec_b64 s[0:1], s[12:13]
	s_cbranch_execnz .LBB16_126
.LBB16_111:                             ;   in Loop: Header=BB16_4 Depth=1
	s_or_b64 exec, exec, s[0:1]
	s_and_saveexec_b64 s[0:1], s[14:15]
	s_cbranch_execnz .LBB16_127
.LBB16_112:                             ;   in Loop: Header=BB16_4 Depth=1
	s_or_b64 exec, exec, s[0:1]
	s_and_saveexec_b64 s[0:1], s[16:17]
	s_cbranch_execnz .LBB16_128
.LBB16_113:                             ;   in Loop: Header=BB16_4 Depth=1
	s_or_b64 exec, exec, s[0:1]
	s_and_saveexec_b64 s[0:1], s[18:19]
	s_cbranch_execnz .LBB16_129
.LBB16_114:                             ;   in Loop: Header=BB16_4 Depth=1
	s_or_b64 exec, exec, s[0:1]
	s_and_saveexec_b64 s[0:1], s[20:21]
	s_cbranch_execnz .LBB16_130
.LBB16_115:                             ;   in Loop: Header=BB16_4 Depth=1
	s_or_b64 exec, exec, s[0:1]
	s_and_saveexec_b64 s[0:1], s[22:23]
	s_cbranch_execnz .LBB16_131
.LBB16_116:                             ;   in Loop: Header=BB16_4 Depth=1
	s_or_b64 exec, exec, s[0:1]
	s_and_saveexec_b64 s[0:1], s[24:25]
	s_cbranch_execnz .LBB16_132
.LBB16_117:                             ;   in Loop: Header=BB16_4 Depth=1
	s_or_b64 exec, exec, s[0:1]
	s_and_saveexec_b64 s[0:1], s[26:27]
	s_cbranch_execnz .LBB16_133
.LBB16_118:                             ;   in Loop: Header=BB16_4 Depth=1
	s_or_b64 exec, exec, s[0:1]
	s_and_saveexec_b64 s[0:1], s[28:29]
	s_cbranch_execnz .LBB16_134
.LBB16_119:                             ;   in Loop: Header=BB16_4 Depth=1
	s_or_b64 exec, exec, s[0:1]
	s_and_saveexec_b64 s[0:1], s[30:31]
	s_cbranch_execz .LBB16_3
	s_branch .LBB16_135
.LBB16_120:                             ;   in Loop: Header=BB16_4 Depth=1
	v_lshlrev_b64 v[34:35], 2, v[50:51]
	v_mov_b32_e32 v36, s50
	v_add_co_u32_e32 v34, vcc, s49, v34
	v_addc_co_u32_e32 v35, vcc, v36, v35, vcc
	s_waitcnt vmcnt(0)
	global_store_dword v[34:35], v2, off
	s_or_b64 exec, exec, s[42:43]
	s_and_saveexec_b64 s[0:1], s[2:3]
	s_cbranch_execz .LBB16_106
.LBB16_121:                             ;   in Loop: Header=BB16_4 Depth=1
	v_lshlrev_b64 v[34:35], 2, v[52:53]
	v_mov_b32_e32 v36, s50
	v_add_co_u32_e32 v34, vcc, s49, v34
	v_addc_co_u32_e32 v35, vcc, v36, v35, vcc
	s_waitcnt vmcnt(0)
	global_store_dword v[34:35], v3, off
	s_or_b64 exec, exec, s[0:1]
	s_and_saveexec_b64 s[0:1], s[4:5]
	s_cbranch_execz .LBB16_107
.LBB16_122:                             ;   in Loop: Header=BB16_4 Depth=1
	v_lshlrev_b64 v[34:35], 2, v[54:55]
	v_mov_b32_e32 v36, s50
	v_add_co_u32_e32 v34, vcc, s49, v34
	v_addc_co_u32_e32 v35, vcc, v36, v35, vcc
	s_waitcnt vmcnt(0)
	global_store_dword v[34:35], v4, off
	s_or_b64 exec, exec, s[0:1]
	s_and_saveexec_b64 s[0:1], s[6:7]
	s_cbranch_execz .LBB16_108
.LBB16_123:                             ;   in Loop: Header=BB16_4 Depth=1
	v_lshlrev_b64 v[34:35], 2, v[56:57]
	v_mov_b32_e32 v36, s50
	v_add_co_u32_e32 v34, vcc, s49, v34
	v_addc_co_u32_e32 v35, vcc, v36, v35, vcc
	s_waitcnt vmcnt(0)
	global_store_dword v[34:35], v5, off
	s_or_b64 exec, exec, s[0:1]
	s_and_saveexec_b64 s[0:1], s[8:9]
	s_cbranch_execz .LBB16_109
.LBB16_124:                             ;   in Loop: Header=BB16_4 Depth=1
	v_lshlrev_b64 v[34:35], 2, v[58:59]
	v_mov_b32_e32 v36, s50
	v_add_co_u32_e32 v34, vcc, s49, v34
	v_addc_co_u32_e32 v35, vcc, v36, v35, vcc
	s_waitcnt vmcnt(0)
	global_store_dword v[34:35], v6, off
	s_or_b64 exec, exec, s[0:1]
	s_and_saveexec_b64 s[0:1], s[10:11]
	s_cbranch_execz .LBB16_110
.LBB16_125:                             ;   in Loop: Header=BB16_4 Depth=1
	v_lshlrev_b64 v[34:35], 2, v[60:61]
	v_mov_b32_e32 v36, s50
	v_add_co_u32_e32 v34, vcc, s49, v34
	v_addc_co_u32_e32 v35, vcc, v36, v35, vcc
	s_waitcnt vmcnt(0)
	global_store_dword v[34:35], v7, off
	s_or_b64 exec, exec, s[0:1]
	s_and_saveexec_b64 s[0:1], s[12:13]
	s_cbranch_execz .LBB16_111
.LBB16_126:                             ;   in Loop: Header=BB16_4 Depth=1
	v_lshlrev_b64 v[34:35], 2, v[62:63]
	v_mov_b32_e32 v36, s50
	v_add_co_u32_e32 v34, vcc, s49, v34
	v_addc_co_u32_e32 v35, vcc, v36, v35, vcc
	s_waitcnt vmcnt(0)
	global_store_dword v[34:35], v8, off
	s_or_b64 exec, exec, s[0:1]
	s_and_saveexec_b64 s[0:1], s[14:15]
	s_cbranch_execz .LBB16_112
.LBB16_127:                             ;   in Loop: Header=BB16_4 Depth=1
	v_lshlrev_b64 v[34:35], 2, v[64:65]
	v_mov_b32_e32 v36, s50
	v_add_co_u32_e32 v34, vcc, s49, v34
	v_addc_co_u32_e32 v35, vcc, v36, v35, vcc
	s_waitcnt vmcnt(0)
	global_store_dword v[34:35], v9, off
	s_or_b64 exec, exec, s[0:1]
	s_and_saveexec_b64 s[0:1], s[16:17]
	s_cbranch_execz .LBB16_113
.LBB16_128:                             ;   in Loop: Header=BB16_4 Depth=1
	v_lshlrev_b64 v[34:35], 2, v[66:67]
	v_mov_b32_e32 v36, s50
	v_add_co_u32_e32 v34, vcc, s49, v34
	v_addc_co_u32_e32 v35, vcc, v36, v35, vcc
	s_waitcnt vmcnt(0)
	global_store_dword v[34:35], v10, off
	s_or_b64 exec, exec, s[0:1]
	s_and_saveexec_b64 s[0:1], s[18:19]
	s_cbranch_execz .LBB16_114
.LBB16_129:                             ;   in Loop: Header=BB16_4 Depth=1
	v_lshlrev_b64 v[34:35], 2, v[68:69]
	v_mov_b32_e32 v36, s50
	v_add_co_u32_e32 v34, vcc, s49, v34
	v_addc_co_u32_e32 v35, vcc, v36, v35, vcc
	s_waitcnt vmcnt(0)
	global_store_dword v[34:35], v11, off
	s_or_b64 exec, exec, s[0:1]
	s_and_saveexec_b64 s[0:1], s[20:21]
	s_cbranch_execz .LBB16_115
.LBB16_130:                             ;   in Loop: Header=BB16_4 Depth=1
	v_lshlrev_b64 v[34:35], 2, v[70:71]
	v_mov_b32_e32 v36, s50
	v_add_co_u32_e32 v34, vcc, s49, v34
	v_addc_co_u32_e32 v35, vcc, v36, v35, vcc
	s_waitcnt vmcnt(0)
	global_store_dword v[34:35], v12, off
	s_or_b64 exec, exec, s[0:1]
	s_and_saveexec_b64 s[0:1], s[22:23]
	s_cbranch_execz .LBB16_116
.LBB16_131:                             ;   in Loop: Header=BB16_4 Depth=1
	v_lshlrev_b64 v[34:35], 2, v[72:73]
	v_mov_b32_e32 v36, s50
	v_add_co_u32_e32 v34, vcc, s49, v34
	v_addc_co_u32_e32 v35, vcc, v36, v35, vcc
	s_waitcnt vmcnt(0)
	global_store_dword v[34:35], v13, off
	s_or_b64 exec, exec, s[0:1]
	s_and_saveexec_b64 s[0:1], s[24:25]
	s_cbranch_execz .LBB16_117
.LBB16_132:                             ;   in Loop: Header=BB16_4 Depth=1
	v_lshlrev_b64 v[34:35], 2, v[74:75]
	v_mov_b32_e32 v36, s50
	v_add_co_u32_e32 v34, vcc, s49, v34
	v_addc_co_u32_e32 v35, vcc, v36, v35, vcc
	s_waitcnt vmcnt(0)
	global_store_dword v[34:35], v14, off
	s_or_b64 exec, exec, s[0:1]
	s_and_saveexec_b64 s[0:1], s[26:27]
	s_cbranch_execz .LBB16_118
.LBB16_133:                             ;   in Loop: Header=BB16_4 Depth=1
	v_lshlrev_b64 v[34:35], 2, v[76:77]
	v_mov_b32_e32 v36, s50
	v_add_co_u32_e32 v34, vcc, s49, v34
	v_addc_co_u32_e32 v35, vcc, v36, v35, vcc
	s_waitcnt vmcnt(0)
	global_store_dword v[34:35], v15, off
	s_or_b64 exec, exec, s[0:1]
	s_and_saveexec_b64 s[0:1], s[28:29]
	s_cbranch_execz .LBB16_119
.LBB16_134:                             ;   in Loop: Header=BB16_4 Depth=1
	v_lshlrev_b64 v[34:35], 2, v[78:79]
	v_mov_b32_e32 v36, s50
	v_add_co_u32_e32 v34, vcc, s49, v34
	v_addc_co_u32_e32 v35, vcc, v36, v35, vcc
	s_waitcnt vmcnt(0)
	global_store_dword v[34:35], v16, off
	s_or_b64 exec, exec, s[0:1]
	s_and_saveexec_b64 s[0:1], s[30:31]
	s_cbranch_execz .LBB16_3
.LBB16_135:                             ;   in Loop: Header=BB16_4 Depth=1
	v_lshlrev_b64 v[34:35], 2, v[80:81]
	v_mov_b32_e32 v36, s50
	v_add_co_u32_e32 v34, vcc, s49, v34
	v_addc_co_u32_e32 v35, vcc, v36, v35, vcc
	s_waitcnt vmcnt(0)
	global_store_dword v[34:35], v17, off
	s_branch .LBB16_3
.LBB16_136:
	s_endpgm
	.section	.rodata,"a",@progbits
	.p2align	6, 0x0
	.amdhsa_kernel _ZN9rocsolver6v33100L24stedc_mergeRotate_kernelIfEEviiPT_iilS3_Pi
		.amdhsa_group_segment_fixed_size 0
		.amdhsa_private_segment_fixed_size 0
		.amdhsa_kernarg_size 304
		.amdhsa_user_sgpr_count 6
		.amdhsa_user_sgpr_private_segment_buffer 1
		.amdhsa_user_sgpr_dispatch_ptr 0
		.amdhsa_user_sgpr_queue_ptr 0
		.amdhsa_user_sgpr_kernarg_segment_ptr 1
		.amdhsa_user_sgpr_dispatch_id 0
		.amdhsa_user_sgpr_flat_scratch_init 0
		.amdhsa_user_sgpr_kernarg_preload_length 0
		.amdhsa_user_sgpr_kernarg_preload_offset 0
		.amdhsa_user_sgpr_private_segment_size 0
		.amdhsa_uses_dynamic_stack 0
		.amdhsa_system_sgpr_private_segment_wavefront_offset 0
		.amdhsa_system_sgpr_workgroup_id_x 1
		.amdhsa_system_sgpr_workgroup_id_y 1
		.amdhsa_system_sgpr_workgroup_id_z 0
		.amdhsa_system_sgpr_workgroup_info 0
		.amdhsa_system_vgpr_workitem_id 0
		.amdhsa_next_free_vgpr 118
		.amdhsa_next_free_sgpr 59
		.amdhsa_accum_offset 120
		.amdhsa_reserve_vcc 1
		.amdhsa_reserve_flat_scratch 0
		.amdhsa_float_round_mode_32 0
		.amdhsa_float_round_mode_16_64 0
		.amdhsa_float_denorm_mode_32 3
		.amdhsa_float_denorm_mode_16_64 3
		.amdhsa_dx10_clamp 1
		.amdhsa_ieee_mode 1
		.amdhsa_fp16_overflow 0
		.amdhsa_tg_split 0
		.amdhsa_exception_fp_ieee_invalid_op 0
		.amdhsa_exception_fp_denorm_src 0
		.amdhsa_exception_fp_ieee_div_zero 0
		.amdhsa_exception_fp_ieee_overflow 0
		.amdhsa_exception_fp_ieee_underflow 0
		.amdhsa_exception_fp_ieee_inexact 0
		.amdhsa_exception_int_div_zero 0
	.end_amdhsa_kernel
	.section	.text._ZN9rocsolver6v33100L24stedc_mergeRotate_kernelIfEEviiPT_iilS3_Pi,"axG",@progbits,_ZN9rocsolver6v33100L24stedc_mergeRotate_kernelIfEEviiPT_iilS3_Pi,comdat
.Lfunc_end16:
	.size	_ZN9rocsolver6v33100L24stedc_mergeRotate_kernelIfEEviiPT_iilS3_Pi, .Lfunc_end16-_ZN9rocsolver6v33100L24stedc_mergeRotate_kernelIfEEviiPT_iilS3_Pi
                                        ; -- End function
	.section	.AMDGPU.csdata,"",@progbits
; Kernel info:
; codeLenInByte = 4240
; NumSgprs: 63
; NumVgprs: 118
; NumAgprs: 0
; TotalNumVgprs: 118
; ScratchSize: 0
; MemoryBound: 0
; FloatMode: 240
; IeeeMode: 1
; LDSByteSize: 0 bytes/workgroup (compile time only)
; SGPRBlocks: 7
; VGPRBlocks: 14
; NumSGPRsForWavesPerEU: 63
; NumVGPRsForWavesPerEU: 118
; AccumOffset: 120
; Occupancy: 4
; WaveLimiterHint : 1
; COMPUTE_PGM_RSRC2:SCRATCH_EN: 0
; COMPUTE_PGM_RSRC2:USER_SGPR: 6
; COMPUTE_PGM_RSRC2:TRAP_HANDLER: 0
; COMPUTE_PGM_RSRC2:TGID_X_EN: 1
; COMPUTE_PGM_RSRC2:TGID_Y_EN: 1
; COMPUTE_PGM_RSRC2:TGID_Z_EN: 0
; COMPUTE_PGM_RSRC2:TIDIG_COMP_CNT: 0
; COMPUTE_PGM_RSRC3_GFX90A:ACCUM_OFFSET: 29
; COMPUTE_PGM_RSRC3_GFX90A:TG_SPLIT: 0
	.section	.text._ZN9rocsolver6v33100L31stedc_mergeValues_SortDZ_kernelIfEEviiPT_lS3_Pi,"axG",@progbits,_ZN9rocsolver6v33100L31stedc_mergeValues_SortDZ_kernelIfEEviiPT_lS3_Pi,comdat
	.globl	_ZN9rocsolver6v33100L31stedc_mergeValues_SortDZ_kernelIfEEviiPT_lS3_Pi ; -- Begin function _ZN9rocsolver6v33100L31stedc_mergeValues_SortDZ_kernelIfEEviiPT_lS3_Pi
	.p2align	8
	.type	_ZN9rocsolver6v33100L31stedc_mergeValues_SortDZ_kernelIfEEviiPT_lS3_Pi,@function
_ZN9rocsolver6v33100L31stedc_mergeValues_SortDZ_kernelIfEEviiPT_lS3_Pi: ; @_ZN9rocsolver6v33100L31stedc_mergeValues_SortDZ_kernelIfEEviiPT_lS3_Pi
; %bb.0:
	s_load_dword s18, s[4:5], 0x4
	s_load_dwordx8 s[8:15], s[4:5], 0x8
	s_load_dword s16, s[4:5], 0x34
	s_ashr_i32 s0, s7, 31
	v_mov_b32_e32 v2, 0
	s_waitcnt lgkmcnt(0)
	s_ashr_i32 s19, s18, 31
	s_mul_i32 s1, s7, s11
	s_mul_hi_u32 s2, s7, s10
	s_add_i32 s1, s2, s1
	s_mul_i32 s0, s0, s10
	s_add_i32 s1, s1, s0
	s_mul_i32 s0, s7, s10
	s_lshl_b64 s[0:1], s[0:1], 2
	s_mul_i32 s2, s18, s7
	s_add_u32 s43, s8, s0
	s_mul_i32 s0, s2, 13
	s_addc_u32 s44, s9, s1
	s_ashr_i32 s1, s0, 31
	s_lshl_b64 s[0:1], s[0:1], 2
	s_add_u32 s3, s14, s0
	s_addc_u32 s4, s15, s1
	s_lshl_b32 s0, s18, 3
	s_ashr_i32 s1, s0, 31
	s_lshl_b64 s[0:1], s[0:1], 2
	s_add_u32 s46, s3, s0
	s_addc_u32 s47, s4, s1
	s_lshl_b64 s[0:1], s[18:19], 3
	s_add_u32 s33, s46, s0
	s_addc_u32 s34, s47, s1
	s_mul_i32 s1, s18, 0xffffffec
	s_mul_hi_i32 s0, s18, 0xffffffec
	s_add_u32 s4, s33, s1
	s_addc_u32 s5, s34, s0
	s_lshl_b64 s[22:23], s[18:19], 2
	s_add_u32 s37, s4, s22
	s_mul_i32 s2, s2, 10
	s_addc_u32 s38, s5, s23
	s_mul_i32 s0, s18, 7
	s_ashr_i32 s3, s2, 31
	s_ashr_i32 s1, s0, 31
	s_lshl_b64 s[2:3], s[2:3], 2
	s_add_u32 s2, s12, s2
	s_addc_u32 s3, s13, s3
	s_lshl_b64 s[0:1], s[0:1], 2
	s_add_u32 s30, s2, s0
	s_addc_u32 s31, s3, s1
	s_add_u32 s35, s30, s22
	s_addc_u32 s36, s31, s23
	;; [unrolled: 2-line block ×3, first 2 shown]
	s_ashr_i32 s7, s6, 31
	s_lshl_b64 s[20:21], s[6:7], 2
	s_add_u32 s0, s39, s20
	s_addc_u32 s1, s40, s21
	s_load_dword s8, s[0:1], 0x0
	s_add_u32 s0, s43, s20
	s_addc_u32 s1, s44, s21
	s_load_dword s7, s[0:1], 0x0
	s_add_u32 s0, s2, s20
	s_addc_u32 s1, s3, s21
	s_add_u32 s2, s4, s20
	s_addc_u32 s3, s5, s21
	;; [unrolled: 2-line block ×3, first 2 shown]
	s_and_b32 s45, s16, 0xffff
	s_lshl_b32 s48, s45, 3
	v_cvt_f32_u32_e32 v3, s48
	s_load_dword s49, s[2:3], 0x0
	s_sub_i32 s2, 0, s48
	s_load_dword s41, s[0:1], 0x0
	s_load_dword s42, s[4:5], 0x0
	v_rcp_iflag_f32_e32 v3, v3
	s_waitcnt lgkmcnt(0)
	v_cmp_lt_f32_e64 s[8:9], s8, 0
	s_add_i32 s0, s49, -1
	s_ashr_i32 s1, s0, 31
	v_mul_f32_e32 v3, 0x4f7ffffe, v3
	v_cvt_u32_f32_e32 v3, v3
	s_abs_i32 s0, s0
	v_cndmask_b32_e64 v19, 1.0, -1.0, s[8:9]
	v_mul_f32_e32 v1, s7, v19
	v_readfirstlane_b32 s3, v3
	s_mul_i32 s2, s2, s3
	s_mul_hi_u32 s2, s3, s2
	s_add_i32 s3, s3, s2
	s_mul_hi_u32 s2, s0, s3
	s_mul_i32 s3, s2, s48
	s_sub_i32 s0, s0, s3
	s_add_i32 s3, s2, 1
	s_sub_i32 s4, s0, s48
	s_cmp_ge_u32 s0, s48
	s_cselect_b32 s2, s3, s2
	s_cselect_b32 s0, s4, s0
	s_add_i32 s3, s2, 1
	s_cmp_ge_u32 s0, s48
	s_cselect_b32 s0, s3, s2
	s_xor_b32 s0, s0, s1
	s_sub_i32 s2, s0, s1
	s_cmp_lt_i32 s2, 0
	s_mov_b64 s[0:1], -1
	v_mov_b32_e32 v18, 0
	s_cbranch_scc1 .LBB17_68
; %bb.1:
	s_add_u32 s0, s46, s20
	s_addc_u32 s1, s47, s21
	s_load_dword s50, s[0:1], 0x0
	s_lshl_b32 s0, s45, 1
	s_add_i32 s52, s42, s0
	s_mul_i32 s0, s45, 3
	s_add_i32 s53, s42, s0
	s_lshl_b32 s0, s45, 2
	s_add_i32 s54, s42, s0
	s_mul_i32 s0, s45, 5
	s_add_i32 s55, s42, s0
	s_mul_i32 s0, s45, 6
	;; [unrolled: 2-line block ×3, first 2 shown]
	s_add_i32 s51, s2, 1
	s_add_i32 s57, s42, s0
	;; [unrolled: 1-line block ×3, first 2 shown]
	v_mov_b32_e32 v20, 0
	v_mov_b32_e32 v21, v0
	;; [unrolled: 1-line block ×5, first 2 shown]
                                        ; implicit-def: $vgpr2_vgpr3_vgpr4_vgpr5_vgpr6_vgpr7_vgpr8_vgpr9
                                        ; implicit-def: $vgpr10_vgpr11_vgpr12_vgpr13_vgpr14_vgpr15_vgpr16_vgpr17
	s_branch .LBB17_4
.LBB17_2:                               ;   in Loop: Header=BB17_4 Depth=1
	s_or_b64 exec, exec, s[8:9]
	v_cmp_u_f32_e32 vcc, v9, v9
	v_cndmask_b32_e64 v24, 0, 1, s[4:5]
	v_addc_co_u32_e32 v20, vcc, 0, v20, vcc
	v_add_u32_e32 v22, v22, v24
	v_cmp_lt_i32_e32 vcc, 0, v17
	v_cndmask_b32_e64 v24, 0, 1, s[0:1]
	v_addc_co_u32_e32 v18, vcc, 0, v18, vcc
	v_add_u32_e32 v23, v23, v24
.LBB17_3:                               ;   in Loop: Header=BB17_4 Depth=1
	s_or_b64 exec, exec, s[2:3]
	s_add_i32 s51, s51, -1
	s_cmp_eq_u32 s51, 0
	v_add_u32_e32 v21, s48, v21
	s_cbranch_scc1 .LBB17_67
.LBB17_4:                               ; =>This Inner Loop Header: Depth=1
	v_cmp_gt_i32_e64 s[14:15], s49, v21
	s_and_saveexec_b64 s[0:1], s[14:15]
	s_cbranch_execz .LBB17_6
; %bb.5:                                ;   in Loop: Header=BB17_4 Depth=1
	v_add_u32_e32 v24, s42, v21
	v_ashrrev_i32_e32 v25, 31, v24
	v_lshlrev_b64 v[24:25], 2, v[24:25]
	v_mov_b32_e32 v2, s44
	v_add_co_u32_e32 v26, vcc, s43, v24
	v_addc_co_u32_e32 v27, vcc, v2, v25, vcc
	s_waitcnt vmcnt(0)
	v_mov_b32_e32 v10, s47
	v_add_co_u32_e32 v24, vcc, s46, v24
	global_load_dword v2, v[26:27], off
	v_addc_co_u32_e32 v25, vcc, v10, v25, vcc
	global_load_dword v10, v[24:25], off
	s_waitcnt vmcnt(1)
	v_mul_f32_e32 v2, v19, v2
.LBB17_6:                               ;   in Loop: Header=BB17_4 Depth=1
	s_or_b64 exec, exec, s[0:1]
	v_add_u32_e32 v24, s45, v21
	v_cmp_gt_i32_e64 s[12:13], s49, v24
	s_and_saveexec_b64 s[0:1], s[12:13]
	s_cbranch_execz .LBB17_8
; %bb.7:                                ;   in Loop: Header=BB17_4 Depth=1
	v_add_u32_e32 v26, s58, v21
	v_ashrrev_i32_e32 v27, 31, v26
	v_lshlrev_b64 v[26:27], 2, v[26:27]
	v_mov_b32_e32 v3, s44
	v_add_co_u32_e32 v28, vcc, s43, v26
	v_addc_co_u32_e32 v29, vcc, v3, v27, vcc
	s_waitcnt vmcnt(0)
	v_mov_b32_e32 v11, s47
	v_add_co_u32_e32 v26, vcc, s46, v26
	global_load_dword v3, v[28:29], off
	v_addc_co_u32_e32 v27, vcc, v11, v27, vcc
	global_load_dword v11, v[26:27], off
	s_waitcnt vmcnt(1)
	v_mul_f32_e32 v3, v19, v3
.LBB17_8:                               ;   in Loop: Header=BB17_4 Depth=1
	s_or_b64 exec, exec, s[0:1]
	v_add_u32_e32 v24, s45, v24
	v_cmp_gt_i32_e64 s[10:11], s49, v24
	s_and_saveexec_b64 s[0:1], s[10:11]
	s_cbranch_execz .LBB17_10
; %bb.9:                                ;   in Loop: Header=BB17_4 Depth=1
	v_add_u32_e32 v26, s52, v21
	v_ashrrev_i32_e32 v27, 31, v26
	v_lshlrev_b64 v[26:27], 2, v[26:27]
	v_mov_b32_e32 v4, s44
	v_add_co_u32_e32 v28, vcc, s43, v26
	v_addc_co_u32_e32 v29, vcc, v4, v27, vcc
	s_waitcnt vmcnt(0)
	v_mov_b32_e32 v12, s47
	v_add_co_u32_e32 v26, vcc, s46, v26
	global_load_dword v4, v[28:29], off
	v_addc_co_u32_e32 v27, vcc, v12, v27, vcc
	global_load_dword v12, v[26:27], off
	s_waitcnt vmcnt(1)
	v_mul_f32_e32 v4, v19, v4
.LBB17_10:                              ;   in Loop: Header=BB17_4 Depth=1
	s_or_b64 exec, exec, s[0:1]
	v_add_u32_e32 v24, s45, v24
	v_cmp_gt_i32_e64 s[8:9], s49, v24
	s_and_saveexec_b64 s[0:1], s[8:9]
	s_cbranch_execz .LBB17_12
; %bb.11:                               ;   in Loop: Header=BB17_4 Depth=1
	v_add_u32_e32 v26, s53, v21
	v_ashrrev_i32_e32 v27, 31, v26
	v_lshlrev_b64 v[26:27], 2, v[26:27]
	v_mov_b32_e32 v5, s44
	v_add_co_u32_e32 v28, vcc, s43, v26
	v_addc_co_u32_e32 v29, vcc, v5, v27, vcc
	s_waitcnt vmcnt(0)
	v_mov_b32_e32 v13, s47
	v_add_co_u32_e32 v26, vcc, s46, v26
	global_load_dword v5, v[28:29], off
	v_addc_co_u32_e32 v27, vcc, v13, v27, vcc
	global_load_dword v13, v[26:27], off
	s_waitcnt vmcnt(1)
	v_mul_f32_e32 v5, v19, v5
.LBB17_12:                              ;   in Loop: Header=BB17_4 Depth=1
	s_or_b64 exec, exec, s[0:1]
	v_add_u32_e32 v24, s45, v24
	v_cmp_gt_i32_e64 s[4:5], s49, v24
	s_and_saveexec_b64 s[0:1], s[4:5]
	s_cbranch_execz .LBB17_14
; %bb.13:                               ;   in Loop: Header=BB17_4 Depth=1
	v_add_u32_e32 v26, s54, v21
	v_ashrrev_i32_e32 v27, 31, v26
	v_lshlrev_b64 v[26:27], 2, v[26:27]
	v_mov_b32_e32 v6, s44
	v_add_co_u32_e32 v28, vcc, s43, v26
	v_addc_co_u32_e32 v29, vcc, v6, v27, vcc
	s_waitcnt vmcnt(0)
	v_mov_b32_e32 v14, s47
	v_add_co_u32_e32 v26, vcc, s46, v26
	global_load_dword v6, v[28:29], off
	v_addc_co_u32_e32 v27, vcc, v14, v27, vcc
	global_load_dword v14, v[26:27], off
	s_waitcnt vmcnt(1)
	v_mul_f32_e32 v6, v19, v6
.LBB17_14:                              ;   in Loop: Header=BB17_4 Depth=1
	;; [unrolled: 21-line block ×4, first 2 shown]
	s_or_b64 exec, exec, s[16:17]
	v_add_u32_e32 v24, s45, v24
	v_cmp_gt_i32_e32 vcc, s49, v24
	s_and_saveexec_b64 s[24:25], vcc
	s_cbranch_execnz .LBB17_27
; %bb.19:                               ;   in Loop: Header=BB17_4 Depth=1
	s_or_b64 exec, exec, s[24:25]
	s_and_saveexec_b64 s[24:25], s[14:15]
	s_cbranch_execnz .LBB17_28
.LBB17_20:                              ;   in Loop: Header=BB17_4 Depth=1
	s_or_b64 exec, exec, s[24:25]
	s_and_saveexec_b64 s[16:17], s[12:13]
	s_cbranch_execnz .LBB17_33
.LBB17_21:                              ;   in Loop: Header=BB17_4 Depth=1
	s_or_b64 exec, exec, s[16:17]
	s_and_saveexec_b64 s[14:15], s[10:11]
	s_cbranch_execnz .LBB17_38
.LBB17_22:                              ;   in Loop: Header=BB17_4 Depth=1
	s_or_b64 exec, exec, s[14:15]
	s_and_saveexec_b64 s[12:13], s[8:9]
	s_cbranch_execnz .LBB17_43
.LBB17_23:                              ;   in Loop: Header=BB17_4 Depth=1
	s_or_b64 exec, exec, s[12:13]
	s_and_saveexec_b64 s[10:11], s[4:5]
	s_cbranch_execnz .LBB17_48
.LBB17_24:                              ;   in Loop: Header=BB17_4 Depth=1
	s_or_b64 exec, exec, s[10:11]
	s_and_saveexec_b64 s[8:9], s[2:3]
	s_cbranch_execnz .LBB17_53
.LBB17_25:                              ;   in Loop: Header=BB17_4 Depth=1
	s_or_b64 exec, exec, s[8:9]
	s_and_saveexec_b64 s[4:5], s[0:1]
	s_cbranch_execnz .LBB17_58
.LBB17_26:                              ;   in Loop: Header=BB17_4 Depth=1
	s_or_b64 exec, exec, s[4:5]
	s_and_saveexec_b64 s[2:3], vcc
	s_cbranch_execz .LBB17_3
	s_branch .LBB17_63
.LBB17_27:                              ;   in Loop: Header=BB17_4 Depth=1
	v_add_u32_e32 v24, s57, v21
	v_ashrrev_i32_e32 v25, 31, v24
	v_lshlrev_b64 v[24:25], 2, v[24:25]
	v_mov_b32_e32 v9, s44
	v_add_co_u32_e64 v26, s[16:17], s43, v24
	v_addc_co_u32_e64 v27, s[16:17], v9, v25, s[16:17]
	s_waitcnt vmcnt(0)
	v_mov_b32_e32 v17, s47
	v_add_co_u32_e64 v24, s[16:17], s46, v24
	global_load_dword v9, v[26:27], off
	v_addc_co_u32_e64 v25, s[16:17], v17, v25, s[16:17]
	global_load_dword v17, v[24:25], off
	s_waitcnt vmcnt(1)
	v_mul_f32_e32 v9, v19, v9
	s_or_b64 exec, exec, s[24:25]
	s_and_saveexec_b64 s[24:25], s[14:15]
	s_cbranch_execz .LBB17_20
.LBB17_28:                              ;   in Loop: Header=BB17_4 Depth=1
	s_waitcnt vmcnt(0) lgkmcnt(0)
	v_cmp_ge_i32_e64 s[14:15], s50, v10
	s_mov_b64 s[26:27], -1
	s_and_saveexec_b64 s[28:29], s[14:15]
; %bb.29:                               ;   in Loop: Header=BB17_4 Depth=1
	v_cmp_eq_u32_e64 s[14:15], s50, v10
	v_cmp_lt_f32_e64 s[16:17], v2, v1
	s_and_b64 s[14:15], s[14:15], s[16:17]
	s_orn2_b64 s[26:27], s[14:15], exec
; %bb.30:                               ;   in Loop: Header=BB17_4 Depth=1
	s_or_b64 exec, exec, s[28:29]
	v_cmp_eq_u32_e64 s[14:15], s50, v10
	v_cmp_eq_f32_e64 s[16:17], v2, v1
	s_and_b64 s[14:15], s[14:15], s[16:17]
	s_mov_b64 s[16:17], 0
	s_and_saveexec_b64 s[28:29], s[14:15]
; %bb.31:                               ;   in Loop: Header=BB17_4 Depth=1
	v_add_u32_e32 v24, s42, v21
	v_cmp_gt_i32_e64 s[14:15], s6, v24
	s_and_b64 s[16:17], s[14:15], exec
; %bb.32:                               ;   in Loop: Header=BB17_4 Depth=1
	s_or_b64 exec, exec, s[28:29]
	v_cmp_u_f32_e64 s[14:15], v2, v2
	v_cndmask_b32_e64 v24, 0, 1, s[26:27]
	v_addc_co_u32_e64 v20, s[14:15], 0, v20, s[14:15]
	v_add_u32_e32 v22, v22, v24
	v_cmp_lt_i32_e64 s[14:15], 0, v10
	v_cndmask_b32_e64 v24, 0, 1, s[16:17]
	v_addc_co_u32_e64 v18, s[14:15], 0, v18, s[14:15]
	v_add_u32_e32 v23, v23, v24
	s_or_b64 exec, exec, s[24:25]
	s_and_saveexec_b64 s[16:17], s[12:13]
	s_cbranch_execz .LBB17_21
.LBB17_33:                              ;   in Loop: Header=BB17_4 Depth=1
	s_waitcnt vmcnt(0) lgkmcnt(0)
	v_cmp_ge_i32_e64 s[12:13], s50, v11
	s_mov_b64 s[24:25], -1
	s_and_saveexec_b64 s[26:27], s[12:13]
; %bb.34:                               ;   in Loop: Header=BB17_4 Depth=1
	v_cmp_eq_u32_e64 s[12:13], s50, v11
	v_cmp_lt_f32_e64 s[14:15], v3, v1
	s_and_b64 s[12:13], s[12:13], s[14:15]
	s_orn2_b64 s[24:25], s[12:13], exec
; %bb.35:                               ;   in Loop: Header=BB17_4 Depth=1
	s_or_b64 exec, exec, s[26:27]
	v_cmp_eq_u32_e64 s[12:13], s50, v11
	v_cmp_eq_f32_e64 s[14:15], v3, v1
	s_and_b64 s[12:13], s[12:13], s[14:15]
	s_mov_b64 s[14:15], 0
	s_and_saveexec_b64 s[26:27], s[12:13]
; %bb.36:                               ;   in Loop: Header=BB17_4 Depth=1
	v_add_u32_e32 v24, s58, v21
	v_cmp_gt_i32_e64 s[12:13], s6, v24
	s_and_b64 s[14:15], s[12:13], exec
; %bb.37:                               ;   in Loop: Header=BB17_4 Depth=1
	s_or_b64 exec, exec, s[26:27]
	v_cmp_u_f32_e64 s[12:13], v3, v3
	v_cndmask_b32_e64 v24, 0, 1, s[24:25]
	v_addc_co_u32_e64 v20, s[12:13], 0, v20, s[12:13]
	v_add_u32_e32 v22, v22, v24
	v_cmp_lt_i32_e64 s[12:13], 0, v11
	v_cndmask_b32_e64 v24, 0, 1, s[14:15]
	v_addc_co_u32_e64 v18, s[12:13], 0, v18, s[12:13]
	v_add_u32_e32 v23, v23, v24
	s_or_b64 exec, exec, s[16:17]
	s_and_saveexec_b64 s[14:15], s[10:11]
	s_cbranch_execz .LBB17_22
.LBB17_38:                              ;   in Loop: Header=BB17_4 Depth=1
	s_waitcnt vmcnt(0) lgkmcnt(0)
	v_cmp_ge_i32_e64 s[10:11], s50, v12
	s_mov_b64 s[16:17], -1
	s_and_saveexec_b64 s[24:25], s[10:11]
; %bb.39:                               ;   in Loop: Header=BB17_4 Depth=1
	v_cmp_eq_u32_e64 s[10:11], s50, v12
	v_cmp_lt_f32_e64 s[12:13], v4, v1
	s_and_b64 s[10:11], s[10:11], s[12:13]
	s_orn2_b64 s[16:17], s[10:11], exec
; %bb.40:                               ;   in Loop: Header=BB17_4 Depth=1
	s_or_b64 exec, exec, s[24:25]
	v_cmp_eq_u32_e64 s[10:11], s50, v12
	v_cmp_eq_f32_e64 s[12:13], v4, v1
	s_and_b64 s[10:11], s[10:11], s[12:13]
	s_mov_b64 s[12:13], 0
	s_and_saveexec_b64 s[24:25], s[10:11]
; %bb.41:                               ;   in Loop: Header=BB17_4 Depth=1
	v_add_u32_e32 v24, s52, v21
	v_cmp_gt_i32_e64 s[10:11], s6, v24
	s_and_b64 s[12:13], s[10:11], exec
; %bb.42:                               ;   in Loop: Header=BB17_4 Depth=1
	s_or_b64 exec, exec, s[24:25]
	v_cmp_u_f32_e64 s[10:11], v4, v4
	v_cndmask_b32_e64 v24, 0, 1, s[16:17]
	v_addc_co_u32_e64 v20, s[10:11], 0, v20, s[10:11]
	v_add_u32_e32 v22, v22, v24
	v_cmp_lt_i32_e64 s[10:11], 0, v12
	v_cndmask_b32_e64 v24, 0, 1, s[12:13]
	v_addc_co_u32_e64 v18, s[10:11], 0, v18, s[10:11]
	v_add_u32_e32 v23, v23, v24
	s_or_b64 exec, exec, s[14:15]
	s_and_saveexec_b64 s[12:13], s[8:9]
	s_cbranch_execz .LBB17_23
.LBB17_43:                              ;   in Loop: Header=BB17_4 Depth=1
	s_waitcnt vmcnt(0) lgkmcnt(0)
	v_cmp_ge_i32_e64 s[8:9], s50, v13
	s_mov_b64 s[14:15], -1
	s_and_saveexec_b64 s[16:17], s[8:9]
; %bb.44:                               ;   in Loop: Header=BB17_4 Depth=1
	v_cmp_eq_u32_e64 s[8:9], s50, v13
	v_cmp_lt_f32_e64 s[10:11], v5, v1
	s_and_b64 s[8:9], s[8:9], s[10:11]
	s_orn2_b64 s[14:15], s[8:9], exec
; %bb.45:                               ;   in Loop: Header=BB17_4 Depth=1
	s_or_b64 exec, exec, s[16:17]
	v_cmp_eq_u32_e64 s[8:9], s50, v13
	v_cmp_eq_f32_e64 s[10:11], v5, v1
	s_and_b64 s[8:9], s[8:9], s[10:11]
	s_mov_b64 s[10:11], 0
	s_and_saveexec_b64 s[16:17], s[8:9]
; %bb.46:                               ;   in Loop: Header=BB17_4 Depth=1
	v_add_u32_e32 v24, s53, v21
	v_cmp_gt_i32_e64 s[8:9], s6, v24
	s_and_b64 s[10:11], s[8:9], exec
; %bb.47:                               ;   in Loop: Header=BB17_4 Depth=1
	s_or_b64 exec, exec, s[16:17]
	v_cmp_u_f32_e64 s[8:9], v5, v5
	v_cndmask_b32_e64 v24, 0, 1, s[14:15]
	v_addc_co_u32_e64 v20, s[8:9], 0, v20, s[8:9]
	v_add_u32_e32 v22, v22, v24
	v_cmp_lt_i32_e64 s[8:9], 0, v13
	v_cndmask_b32_e64 v24, 0, 1, s[10:11]
	v_addc_co_u32_e64 v18, s[8:9], 0, v18, s[8:9]
	v_add_u32_e32 v23, v23, v24
	s_or_b64 exec, exec, s[12:13]
	s_and_saveexec_b64 s[10:11], s[4:5]
	s_cbranch_execz .LBB17_24
.LBB17_48:                              ;   in Loop: Header=BB17_4 Depth=1
	s_waitcnt vmcnt(0) lgkmcnt(0)
	v_cmp_ge_i32_e64 s[4:5], s50, v14
	s_mov_b64 s[12:13], -1
	s_and_saveexec_b64 s[14:15], s[4:5]
; %bb.49:                               ;   in Loop: Header=BB17_4 Depth=1
	v_cmp_eq_u32_e64 s[4:5], s50, v14
	v_cmp_lt_f32_e64 s[8:9], v6, v1
	s_and_b64 s[4:5], s[4:5], s[8:9]
	s_orn2_b64 s[12:13], s[4:5], exec
; %bb.50:                               ;   in Loop: Header=BB17_4 Depth=1
	s_or_b64 exec, exec, s[14:15]
	v_cmp_eq_u32_e64 s[4:5], s50, v14
	v_cmp_eq_f32_e64 s[8:9], v6, v1
	s_and_b64 s[4:5], s[4:5], s[8:9]
	s_mov_b64 s[8:9], 0
	s_and_saveexec_b64 s[14:15], s[4:5]
; %bb.51:                               ;   in Loop: Header=BB17_4 Depth=1
	v_add_u32_e32 v24, s54, v21
	v_cmp_gt_i32_e64 s[4:5], s6, v24
	s_and_b64 s[8:9], s[4:5], exec
; %bb.52:                               ;   in Loop: Header=BB17_4 Depth=1
	s_or_b64 exec, exec, s[14:15]
	v_cmp_u_f32_e64 s[4:5], v6, v6
	v_cndmask_b32_e64 v24, 0, 1, s[12:13]
	v_addc_co_u32_e64 v20, s[4:5], 0, v20, s[4:5]
	v_add_u32_e32 v22, v22, v24
	v_cmp_lt_i32_e64 s[4:5], 0, v14
	v_cndmask_b32_e64 v24, 0, 1, s[8:9]
	v_addc_co_u32_e64 v18, s[4:5], 0, v18, s[4:5]
	v_add_u32_e32 v23, v23, v24
	s_or_b64 exec, exec, s[10:11]
	s_and_saveexec_b64 s[8:9], s[2:3]
	s_cbranch_execz .LBB17_25
.LBB17_53:                              ;   in Loop: Header=BB17_4 Depth=1
	s_waitcnt vmcnt(0) lgkmcnt(0)
	v_cmp_ge_i32_e64 s[2:3], s50, v15
	s_mov_b64 s[10:11], -1
	s_and_saveexec_b64 s[12:13], s[2:3]
; %bb.54:                               ;   in Loop: Header=BB17_4 Depth=1
	v_cmp_eq_u32_e64 s[2:3], s50, v15
	v_cmp_lt_f32_e64 s[4:5], v7, v1
	s_and_b64 s[2:3], s[2:3], s[4:5]
	s_orn2_b64 s[10:11], s[2:3], exec
; %bb.55:                               ;   in Loop: Header=BB17_4 Depth=1
	s_or_b64 exec, exec, s[12:13]
	v_cmp_eq_u32_e64 s[2:3], s50, v15
	v_cmp_eq_f32_e64 s[4:5], v7, v1
	s_and_b64 s[2:3], s[2:3], s[4:5]
	s_mov_b64 s[4:5], 0
	s_and_saveexec_b64 s[12:13], s[2:3]
; %bb.56:                               ;   in Loop: Header=BB17_4 Depth=1
	v_add_u32_e32 v24, s55, v21
	v_cmp_gt_i32_e64 s[2:3], s6, v24
	s_and_b64 s[4:5], s[2:3], exec
; %bb.57:                               ;   in Loop: Header=BB17_4 Depth=1
	s_or_b64 exec, exec, s[12:13]
	v_cmp_u_f32_e64 s[2:3], v7, v7
	v_cndmask_b32_e64 v24, 0, 1, s[10:11]
	v_addc_co_u32_e64 v20, s[2:3], 0, v20, s[2:3]
	v_add_u32_e32 v22, v22, v24
	v_cmp_lt_i32_e64 s[2:3], 0, v15
	v_cndmask_b32_e64 v24, 0, 1, s[4:5]
	v_addc_co_u32_e64 v18, s[2:3], 0, v18, s[2:3]
	v_add_u32_e32 v23, v23, v24
	s_or_b64 exec, exec, s[8:9]
	s_and_saveexec_b64 s[4:5], s[0:1]
	s_cbranch_execz .LBB17_26
.LBB17_58:                              ;   in Loop: Header=BB17_4 Depth=1
	s_waitcnt vmcnt(0) lgkmcnt(0)
	v_cmp_ge_i32_e64 s[0:1], s50, v16
	s_mov_b64 s[8:9], -1
	s_and_saveexec_b64 s[10:11], s[0:1]
; %bb.59:                               ;   in Loop: Header=BB17_4 Depth=1
	v_cmp_eq_u32_e64 s[0:1], s50, v16
	v_cmp_lt_f32_e64 s[2:3], v8, v1
	s_and_b64 s[0:1], s[0:1], s[2:3]
	s_orn2_b64 s[8:9], s[0:1], exec
; %bb.60:                               ;   in Loop: Header=BB17_4 Depth=1
	s_or_b64 exec, exec, s[10:11]
	v_cmp_eq_u32_e64 s[0:1], s50, v16
	v_cmp_eq_f32_e64 s[2:3], v8, v1
	s_and_b64 s[0:1], s[0:1], s[2:3]
	s_mov_b64 s[2:3], 0
	s_and_saveexec_b64 s[10:11], s[0:1]
; %bb.61:                               ;   in Loop: Header=BB17_4 Depth=1
	v_add_u32_e32 v24, s56, v21
	v_cmp_gt_i32_e64 s[0:1], s6, v24
	s_and_b64 s[2:3], s[0:1], exec
; %bb.62:                               ;   in Loop: Header=BB17_4 Depth=1
	s_or_b64 exec, exec, s[10:11]
	v_cmp_u_f32_e64 s[0:1], v8, v8
	v_cndmask_b32_e64 v24, 0, 1, s[8:9]
	v_addc_co_u32_e64 v20, s[0:1], 0, v20, s[0:1]
	v_add_u32_e32 v22, v22, v24
	v_cmp_lt_i32_e64 s[0:1], 0, v16
	v_cndmask_b32_e64 v24, 0, 1, s[2:3]
	v_addc_co_u32_e64 v18, s[0:1], 0, v18, s[0:1]
	v_add_u32_e32 v23, v23, v24
	s_or_b64 exec, exec, s[4:5]
	s_and_saveexec_b64 s[2:3], vcc
	s_cbranch_execz .LBB17_3
.LBB17_63:                              ;   in Loop: Header=BB17_4 Depth=1
	s_waitcnt vmcnt(0) lgkmcnt(0)
	v_cmp_ge_i32_e32 vcc, s50, v17
	s_mov_b64 s[4:5], -1
	s_and_saveexec_b64 s[8:9], vcc
; %bb.64:                               ;   in Loop: Header=BB17_4 Depth=1
	v_cmp_eq_u32_e32 vcc, s50, v17
	v_cmp_lt_f32_e64 s[0:1], v9, v1
	s_and_b64 s[0:1], vcc, s[0:1]
	s_orn2_b64 s[4:5], s[0:1], exec
; %bb.65:                               ;   in Loop: Header=BB17_4 Depth=1
	s_or_b64 exec, exec, s[8:9]
	v_cmp_eq_u32_e32 vcc, s50, v17
	v_cmp_eq_f32_e64 s[0:1], v9, v1
	s_and_b64 s[10:11], vcc, s[0:1]
	s_mov_b64 s[0:1], 0
	s_and_saveexec_b64 s[8:9], s[10:11]
	s_cbranch_execz .LBB17_2
; %bb.66:                               ;   in Loop: Header=BB17_4 Depth=1
	v_add_u32_e32 v24, s57, v21
	v_cmp_gt_i32_e32 vcc, s6, v24
	s_and_b64 s[0:1], vcc, exec
	s_branch .LBB17_2
.LBB17_67:
	v_add_u32_e32 v2, v22, v23
	v_cmp_eq_u32_e64 s[0:1], 0, v20
.LBB17_68:
	v_lshlrev_b32_e32 v3, 2, v0
	s_cmp_lt_u32 s45, 2
	ds_write2st64_b32 v3, v18, v2 offset1:8
	s_waitcnt lgkmcnt(0)
	s_barrier
	s_cbranch_scc1 .LBB17_73
; %bb.69:
	v_or_b32_e32 v4, 0x800, v3
	s_lshr_b32 s4, s45, 1
	v_cmp_gt_u32_e32 vcc, s4, v0
	s_and_saveexec_b64 s[2:3], vcc
	s_cbranch_execz .LBB17_71
.LBB17_70:
	s_lshl_b32 s5, s4, 2
	v_add_u32_e32 v5, s5, v4
	v_add_u32_e32 v6, s5, v3
	ds_read_b32 v5, v5
	ds_read_b32 v6, v6
	s_waitcnt lgkmcnt(1)
	v_add_u32_e32 v2, v5, v2
	s_waitcnt lgkmcnt(0)
	v_add_u32_e32 v18, v6, v18
	ds_write_b32 v4, v2
	ds_write_b32 v3, v18
.LBB17_71:                              ; =>This Inner Loop Header: Depth=1
	s_or_b64 exec, exec, s[2:3]
	s_cmp_gt_u32 s45, 3
	s_waitcnt lgkmcnt(0)
	s_barrier
	s_cbranch_scc0 .LBB17_73
; %bb.72:                               ;   in Loop: Header=BB17_71 Depth=1
	s_mov_b32 s45, s4
	s_lshr_b32 s4, s45, 1
	v_cmp_gt_u32_e32 vcc, s4, v0
	s_and_saveexec_b64 s[2:3], vcc
	s_cbranch_execnz .LBB17_70
	s_branch .LBB17_71
.LBB17_73:
	s_xor_b64 s[0:1], s[0:1], -1
	v_cmp_eq_u32_e32 vcc, 0, v0
	s_and_saveexec_b64 s[2:3], vcc
	s_cbranch_execz .LBB17_75
; %bb.74:
	v_add_u32_e32 v2, s42, v2
	s_add_u32 s8, s37, s22
	v_ashrrev_i32_e32 v3, 31, v2
	s_addc_u32 s9, s38, s23
	v_lshlrev_b64 v[2:3], 2, v[2:3]
	v_mov_b32_e32 v0, s9
	v_add_co_u32_e32 v4, vcc, s8, v2
	v_addc_co_u32_e32 v5, vcc, v0, v3, vcc
	global_store_dword v[4:5], v18, off
	v_mov_b32_e32 v0, s34
	v_add_co_u32_e32 v4, vcc, s33, v2
	v_addc_co_u32_e32 v5, vcc, v0, v3, vcc
	v_mov_b32_e32 v0, s6
	global_store_dword v[4:5], v0, off
	v_mov_b32_e32 v0, s31
	v_add_co_u32_e32 v4, vcc, s30, v2
	s_lshl_b64 s[4:5], s[18:19], 5
	v_addc_co_u32_e32 v5, vcc, v0, v3, vcc
	s_sub_u32 s4, s39, s4
	global_store_dword v[4:5], v1, off
	v_mov_b32_e32 v1, s36
	v_add_co_u32_e32 v0, vcc, s35, v2
	s_subb_u32 s5, s40, s5
	v_addc_co_u32_e32 v1, vcc, v1, v3, vcc
	v_mov_b32_e32 v4, s41
	global_store_dword v[0:1], v4, off
	v_mov_b32_e32 v1, s5
	v_add_co_u32_e32 v0, vcc, s4, v2
	v_addc_co_u32_e32 v1, vcc, v1, v3, vcc
	v_mov_b32_e32 v2, s7
	global_store_dword v[0:1], v2, off
.LBB17_75:
	s_or_b64 exec, exec, s[2:3]
	s_barrier
	s_and_saveexec_b64 s[2:3], s[0:1]
	s_cbranch_execz .LBB17_77
; %bb.76:
	s_add_u32 s0, s30, s20
	s_addc_u32 s1, s31, s21
	v_mov_b32_e32 v0, 0
	v_mov_b32_e32 v1, 0x7fc00000
	global_store_dword v0, v1, s[0:1]
.LBB17_77:
	s_endpgm
	.section	.rodata,"a",@progbits
	.p2align	6, 0x0
	.amdhsa_kernel _ZN9rocsolver6v33100L31stedc_mergeValues_SortDZ_kernelIfEEviiPT_lS3_Pi
		.amdhsa_group_segment_fixed_size 4096
		.amdhsa_private_segment_fixed_size 0
		.amdhsa_kernarg_size 296
		.amdhsa_user_sgpr_count 6
		.amdhsa_user_sgpr_private_segment_buffer 1
		.amdhsa_user_sgpr_dispatch_ptr 0
		.amdhsa_user_sgpr_queue_ptr 0
		.amdhsa_user_sgpr_kernarg_segment_ptr 1
		.amdhsa_user_sgpr_dispatch_id 0
		.amdhsa_user_sgpr_flat_scratch_init 0
		.amdhsa_user_sgpr_kernarg_preload_length 0
		.amdhsa_user_sgpr_kernarg_preload_offset 0
		.amdhsa_user_sgpr_private_segment_size 0
		.amdhsa_uses_dynamic_stack 0
		.amdhsa_system_sgpr_private_segment_wavefront_offset 0
		.amdhsa_system_sgpr_workgroup_id_x 1
		.amdhsa_system_sgpr_workgroup_id_y 1
		.amdhsa_system_sgpr_workgroup_id_z 0
		.amdhsa_system_sgpr_workgroup_info 0
		.amdhsa_system_vgpr_workitem_id 0
		.amdhsa_next_free_vgpr 30
		.amdhsa_next_free_sgpr 59
		.amdhsa_accum_offset 32
		.amdhsa_reserve_vcc 1
		.amdhsa_reserve_flat_scratch 0
		.amdhsa_float_round_mode_32 0
		.amdhsa_float_round_mode_16_64 0
		.amdhsa_float_denorm_mode_32 3
		.amdhsa_float_denorm_mode_16_64 3
		.amdhsa_dx10_clamp 1
		.amdhsa_ieee_mode 1
		.amdhsa_fp16_overflow 0
		.amdhsa_tg_split 0
		.amdhsa_exception_fp_ieee_invalid_op 0
		.amdhsa_exception_fp_denorm_src 0
		.amdhsa_exception_fp_ieee_div_zero 0
		.amdhsa_exception_fp_ieee_overflow 0
		.amdhsa_exception_fp_ieee_underflow 0
		.amdhsa_exception_fp_ieee_inexact 0
		.amdhsa_exception_int_div_zero 0
	.end_amdhsa_kernel
	.section	.text._ZN9rocsolver6v33100L31stedc_mergeValues_SortDZ_kernelIfEEviiPT_lS3_Pi,"axG",@progbits,_ZN9rocsolver6v33100L31stedc_mergeValues_SortDZ_kernelIfEEviiPT_lS3_Pi,comdat
.Lfunc_end17:
	.size	_ZN9rocsolver6v33100L31stedc_mergeValues_SortDZ_kernelIfEEviiPT_lS3_Pi, .Lfunc_end17-_ZN9rocsolver6v33100L31stedc_mergeValues_SortDZ_kernelIfEEviiPT_lS3_Pi
                                        ; -- End function
	.section	.AMDGPU.csdata,"",@progbits
; Kernel info:
; codeLenInByte = 3092
; NumSgprs: 63
; NumVgprs: 30
; NumAgprs: 0
; TotalNumVgprs: 30
; ScratchSize: 0
; MemoryBound: 0
; FloatMode: 240
; IeeeMode: 1
; LDSByteSize: 4096 bytes/workgroup (compile time only)
; SGPRBlocks: 7
; VGPRBlocks: 3
; NumSGPRsForWavesPerEU: 63
; NumVGPRsForWavesPerEU: 30
; AccumOffset: 32
; Occupancy: 8
; WaveLimiterHint : 1
; COMPUTE_PGM_RSRC2:SCRATCH_EN: 0
; COMPUTE_PGM_RSRC2:USER_SGPR: 6
; COMPUTE_PGM_RSRC2:TRAP_HANDLER: 0
; COMPUTE_PGM_RSRC2:TGID_X_EN: 1
; COMPUTE_PGM_RSRC2:TGID_Y_EN: 1
; COMPUTE_PGM_RSRC2:TGID_Z_EN: 0
; COMPUTE_PGM_RSRC2:TIDIG_COMP_CNT: 0
; COMPUTE_PGM_RSRC3_GFX90A:ACCUM_OFFSET: 7
; COMPUTE_PGM_RSRC3_GFX90A:TG_SPLIT: 0
	.section	.text._ZN9rocsolver6v33100L30stedc_mergeValues_copyD_kernelIfEEviiPT_lS3_S3_Pi,"axG",@progbits,_ZN9rocsolver6v33100L30stedc_mergeValues_copyD_kernelIfEEviiPT_lS3_S3_Pi,comdat
	.globl	_ZN9rocsolver6v33100L30stedc_mergeValues_copyD_kernelIfEEviiPT_lS3_S3_Pi ; -- Begin function _ZN9rocsolver6v33100L30stedc_mergeValues_copyD_kernelIfEEviiPT_lS3_S3_Pi
	.p2align	8
	.type	_ZN9rocsolver6v33100L30stedc_mergeValues_copyD_kernelIfEEviiPT_lS3_S3_Pi,@function
_ZN9rocsolver6v33100L30stedc_mergeValues_copyD_kernelIfEEviiPT_lS3_S3_Pi: ; @_ZN9rocsolver6v33100L30stedc_mergeValues_copyD_kernelIfEEviiPT_lS3_S3_Pi
; %bb.0:
	s_load_dword s2, s[4:5], 0x4
	s_load_dwordx8 s[8:15], s[4:5], 0x8
	s_load_dwordx2 s[16:17], s[4:5], 0x28
	s_load_dword s20, s[4:5], 0x3c
	s_mov_b32 s0, s7
	s_waitcnt lgkmcnt(0)
	s_mul_i32 s1, s7, s2
	s_mul_i32 s4, s1, 13
	s_ashr_i32 s5, s4, 31
	s_lshl_b64 s[4:5], s[4:5], 2
	s_add_u32 s3, s16, s4
	s_mul_i32 s4, s2, 7
	s_addc_u32 s7, s17, s5
	s_ashr_i32 s5, s4, 31
	s_lshl_b64 s[4:5], s[4:5], 2
	s_add_u32 s21, s3, s4
	s_mul_i32 s16, s1, 10
	s_addc_u32 s22, s7, s5
	s_ashr_i32 s3, s2, 31
	s_ashr_i32 s17, s16, 31
	s_lshl_b64 s[18:19], s[2:3], 2
	s_lshl_b64 s[16:17], s[16:17], 2
	s_add_u32 s3, s12, s16
	s_addc_u32 s7, s13, s17
	s_add_u32 s3, s3, s4
	s_addc_u32 s16, s7, s5
	s_ashr_i32 s7, s6, 31
	s_lshl_b64 s[4:5], s[6:7], 2
	s_add_u32 s4, s21, s4
	s_addc_u32 s5, s22, s5
	s_sub_u32 s18, s4, s18
	s_subb_u32 s19, s5, s19
	s_load_dword s7, s[4:5], 0x0
	s_load_dword s12, s[18:19], 0x0
	s_and_b32 s13, s20, 0xffff
	s_mul_i32 s4, s6, s13
	v_add_u32_e32 v2, s4, v0
	v_cmp_gt_i32_e32 vcc, s2, v2
	s_and_saveexec_b64 s[4:5], vcc
	s_cbranch_execz .LBB18_2
; %bb.1:
	s_mul_i32 s18, s2, 0xffffffe8
	s_mul_hi_i32 s17, s2, 0xffffffe8
	s_add_u32 s18, s3, s18
	v_ashrrev_i32_e32 v3, 31, v2
	s_addc_u32 s17, s16, s17
	v_lshlrev_b64 v[2:3], 2, v[2:3]
	v_mov_b32_e32 v1, s17
	v_add_co_u32_e32 v4, vcc, s18, v2
	v_addc_co_u32_e32 v5, vcc, v1, v3, vcc
	global_load_dword v1, v[4:5], off
	s_ashr_i32 s17, s0, 31
	s_mul_i32 s11, s0, s11
	s_mul_hi_u32 s18, s0, s10
	s_add_i32 s11, s18, s11
	s_mul_i32 s17, s17, s10
	s_add_i32 s11, s11, s17
	s_mul_i32 s10, s0, s10
	s_lshl_b64 s[10:11], s[10:11], 2
	s_add_u32 s0, s8, s10
	s_addc_u32 s8, s9, s11
	v_mov_b32_e32 v4, s8
	v_add_co_u32_e32 v2, vcc, s0, v2
	v_addc_co_u32_e32 v3, vcc, v4, v3, vcc
	s_waitcnt vmcnt(0)
	global_store_dword v[2:3], v1, off
.LBB18_2:
	s_or_b64 exec, exec, s[4:5]
	s_waitcnt lgkmcnt(0)
	v_cmp_gt_i32_e32 vcc, s7, v0
	s_and_saveexec_b64 s[4:5], vcc
	s_cbranch_execz .LBB18_5
; %bb.3:
	s_mul_i32 s1, s1, s2
	s_lshl_b32 s0, s1, 1
	s_ashr_i32 s1, s0, 31
	s_lshl_b64 s[0:1], s[0:1], 2
	s_add_u32 s4, s14, s0
	s_addc_u32 s5, s15, s1
	s_mul_i32 s0, s2, s2
	s_mov_b32 s1, 0
	s_lshl_b64 s[0:1], s[0:1], 2
	s_add_u32 s4, s4, s0
	s_addc_u32 s5, s5, s1
	s_mul_i32 s2, s6, s2
	s_mov_b64 s[0:1], 0
	v_mov_b32_e32 v1, s16
	v_mov_b32_e32 v2, s5
.LBB18_4:                               ; =>This Inner Loop Header: Depth=1
	v_add_u32_e32 v4, s12, v0
	v_ashrrev_i32_e32 v5, 31, v4
	v_lshlrev_b64 v[4:5], 2, v[4:5]
	v_add_co_u32_e32 v4, vcc, s3, v4
	v_addc_co_u32_e32 v5, vcc, v1, v5, vcc
	global_load_dword v3, v[4:5], off
	v_add_u32_e32 v4, s2, v0
	v_add_u32_e32 v0, s13, v0
	v_ashrrev_i32_e32 v5, 31, v4
	v_cmp_le_i32_e32 vcc, s7, v0
	v_lshlrev_b64 v[4:5], 2, v[4:5]
	s_or_b64 s[0:1], vcc, s[0:1]
	v_add_co_u32_e32 v4, vcc, s4, v4
	v_addc_co_u32_e32 v5, vcc, v2, v5, vcc
	s_waitcnt vmcnt(0)
	global_store_dword v[4:5], v3, off
	s_andn2_b64 exec, exec, s[0:1]
	s_cbranch_execnz .LBB18_4
.LBB18_5:
	s_endpgm
	.section	.rodata,"a",@progbits
	.p2align	6, 0x0
	.amdhsa_kernel _ZN9rocsolver6v33100L30stedc_mergeValues_copyD_kernelIfEEviiPT_lS3_S3_Pi
		.amdhsa_group_segment_fixed_size 0
		.amdhsa_private_segment_fixed_size 0
		.amdhsa_kernarg_size 304
		.amdhsa_user_sgpr_count 6
		.amdhsa_user_sgpr_private_segment_buffer 1
		.amdhsa_user_sgpr_dispatch_ptr 0
		.amdhsa_user_sgpr_queue_ptr 0
		.amdhsa_user_sgpr_kernarg_segment_ptr 1
		.amdhsa_user_sgpr_dispatch_id 0
		.amdhsa_user_sgpr_flat_scratch_init 0
		.amdhsa_user_sgpr_kernarg_preload_length 0
		.amdhsa_user_sgpr_kernarg_preload_offset 0
		.amdhsa_user_sgpr_private_segment_size 0
		.amdhsa_uses_dynamic_stack 0
		.amdhsa_system_sgpr_private_segment_wavefront_offset 0
		.amdhsa_system_sgpr_workgroup_id_x 1
		.amdhsa_system_sgpr_workgroup_id_y 1
		.amdhsa_system_sgpr_workgroup_id_z 0
		.amdhsa_system_sgpr_workgroup_info 0
		.amdhsa_system_vgpr_workitem_id 0
		.amdhsa_next_free_vgpr 6
		.amdhsa_next_free_sgpr 23
		.amdhsa_accum_offset 8
		.amdhsa_reserve_vcc 1
		.amdhsa_reserve_flat_scratch 0
		.amdhsa_float_round_mode_32 0
		.amdhsa_float_round_mode_16_64 0
		.amdhsa_float_denorm_mode_32 3
		.amdhsa_float_denorm_mode_16_64 3
		.amdhsa_dx10_clamp 1
		.amdhsa_ieee_mode 1
		.amdhsa_fp16_overflow 0
		.amdhsa_tg_split 0
		.amdhsa_exception_fp_ieee_invalid_op 0
		.amdhsa_exception_fp_denorm_src 0
		.amdhsa_exception_fp_ieee_div_zero 0
		.amdhsa_exception_fp_ieee_overflow 0
		.amdhsa_exception_fp_ieee_underflow 0
		.amdhsa_exception_fp_ieee_inexact 0
		.amdhsa_exception_int_div_zero 0
	.end_amdhsa_kernel
	.section	.text._ZN9rocsolver6v33100L30stedc_mergeValues_copyD_kernelIfEEviiPT_lS3_S3_Pi,"axG",@progbits,_ZN9rocsolver6v33100L30stedc_mergeValues_copyD_kernelIfEEviiPT_lS3_S3_Pi,comdat
.Lfunc_end18:
	.size	_ZN9rocsolver6v33100L30stedc_mergeValues_copyD_kernelIfEEviiPT_lS3_S3_Pi, .Lfunc_end18-_ZN9rocsolver6v33100L30stedc_mergeValues_copyD_kernelIfEEviiPT_lS3_S3_Pi
                                        ; -- End function
	.section	.AMDGPU.csdata,"",@progbits
; Kernel info:
; codeLenInByte = 480
; NumSgprs: 27
; NumVgprs: 6
; NumAgprs: 0
; TotalNumVgprs: 6
; ScratchSize: 0
; MemoryBound: 0
; FloatMode: 240
; IeeeMode: 1
; LDSByteSize: 0 bytes/workgroup (compile time only)
; SGPRBlocks: 3
; VGPRBlocks: 0
; NumSGPRsForWavesPerEU: 27
; NumVGPRsForWavesPerEU: 6
; AccumOffset: 8
; Occupancy: 8
; WaveLimiterHint : 1
; COMPUTE_PGM_RSRC2:SCRATCH_EN: 0
; COMPUTE_PGM_RSRC2:USER_SGPR: 6
; COMPUTE_PGM_RSRC2:TRAP_HANDLER: 0
; COMPUTE_PGM_RSRC2:TGID_X_EN: 1
; COMPUTE_PGM_RSRC2:TGID_Y_EN: 1
; COMPUTE_PGM_RSRC2:TGID_Z_EN: 0
; COMPUTE_PGM_RSRC2:TIDIG_COMP_CNT: 0
; COMPUTE_PGM_RSRC3_GFX90A:ACCUM_OFFSET: 1
; COMPUTE_PGM_RSRC3_GFX90A:TG_SPLIT: 0
	.section	.text._ZN9rocsolver6v33100L11stedc_copyCIfPfS2_EEviT0_iilT1_iil,"axG",@progbits,_ZN9rocsolver6v33100L11stedc_copyCIfPfS2_EEviT0_iilT1_iil,comdat
	.globl	_ZN9rocsolver6v33100L11stedc_copyCIfPfS2_EEviT0_iilT1_iil ; -- Begin function _ZN9rocsolver6v33100L11stedc_copyCIfPfS2_EEviT0_iilT1_iil
	.p2align	8
	.type	_ZN9rocsolver6v33100L11stedc_copyCIfPfS2_EEviT0_iilT1_iil,@function
_ZN9rocsolver6v33100L11stedc_copyCIfPfS2_EEviT0_iilT1_iil: ; @_ZN9rocsolver6v33100L11stedc_copyCIfPfS2_EEviT0_iilT1_iil
; %bb.0:
	s_load_dword s0, s[4:5], 0x44
	s_load_dword s37, s[4:5], 0x0
	s_waitcnt lgkmcnt(0)
	s_and_b32 s33, s0, 0xffff
	s_lshl_b32 s36, s33, 4
	v_cvt_f32_u32_e32 v1, s36
	s_sub_i32 s2, 0, s36
	s_add_i32 s0, s37, -1
	s_ashr_i32 s1, s0, 31
	v_rcp_iflag_f32_e32 v1, v1
	s_abs_i32 s0, s0
	v_mul_f32_e32 v1, 0x4f7ffffe, v1
	v_cvt_u32_f32_e32 v1, v1
	v_readfirstlane_b32 s3, v1
	s_mul_i32 s2, s2, s3
	s_mul_hi_u32 s2, s3, s2
	s_add_i32 s3, s3, s2
	s_mul_hi_u32 s2, s0, s3
	s_mul_i32 s3, s2, s36
	s_sub_i32 s0, s0, s3
	s_add_i32 s8, s2, 1
	s_sub_i32 s3, s0, s36
	s_cmp_ge_u32 s0, s36
	s_cselect_b32 s2, s8, s2
	s_cselect_b32 s0, s3, s0
	s_add_i32 s3, s2, 1
	s_cmp_ge_u32 s0, s36
	s_cselect_b32 s0, s3, s2
	s_xor_b32 s0, s0, s1
	s_sub_i32 s16, s0, s1
	s_cmp_lt_i32 s16, 0
	s_cbranch_scc1 .LBB19_67
; %bb.1:
	s_load_dwordx8 s[8:15], s[4:5], 0x8
	s_load_dwordx4 s[0:3], s[4:5], 0x28
	s_ashr_i32 s17, s7, 31
	s_mul_i32 s44, s33, 3
	s_mul_i32 s46, s33, 5
	s_waitcnt lgkmcnt(0)
	s_ashr_i32 s5, s10, 31
	s_mov_b32 s4, s10
	s_mul_i32 s10, s7, s13
	s_mul_hi_u32 s13, s7, s12
	s_add_i32 s10, s13, s10
	s_mul_i32 s13, s17, s12
	s_add_i32 s13, s10, s13
	s_mul_i32 s12, s7, s12
	s_lshl_b64 s[12:13], s[12:13], 2
	s_add_u32 s8, s8, s12
	s_addc_u32 s9, s9, s13
	s_lshl_b64 s[4:5], s[4:5], 2
	s_add_u32 s8, s8, s4
	s_addc_u32 s9, s9, s5
	s_ashr_i32 s5, s0, 31
	s_mov_b32 s4, s0
	s_mul_i32 s0, s7, s3
	s_mul_hi_u32 s3, s7, s2
	s_add_i32 s0, s3, s0
	s_mul_i32 s17, s17, s2
	s_add_i32 s3, s0, s17
	s_mul_i32 s2, s7, s2
	s_lshl_b64 s[2:3], s[2:3], 2
	s_add_u32 s0, s14, s2
	s_addc_u32 s7, s15, s3
	s_lshl_b64 s[2:3], s[4:5], 2
	s_add_u32 s4, s0, s2
	s_mul_i32 s2, s6, s11
	s_addc_u32 s5, s7, s3
	s_ashr_i32 s3, s2, 31
	s_lshl_b64 s[2:3], s[2:3], 2
	s_add_u32 s38, s8, s2
	s_mul_i32 s0, s6, s1
	s_addc_u32 s39, s9, s3
	s_ashr_i32 s1, s0, 31
	s_lshl_b64 s[0:1], s[0:1], 2
	s_add_u32 s40, s4, s0
	s_addc_u32 s41, s5, s1
	s_add_i32 s42, s16, 1
	s_lshl_b32 s43, s33, 1
	s_lshl_b32 s45, s33, 2
	s_mul_i32 s47, s33, 6
	s_mul_i32 s48, s33, 7
	s_lshl_b32 s49, s33, 3
	s_mul_i32 s50, s33, 9
	s_mul_i32 s51, s33, 10
	;; [unrolled: 1-line block ×7, first 2 shown]
                                        ; implicit-def: $vgpr2_vgpr3_vgpr4_vgpr5_vgpr6_vgpr7_vgpr8_vgpr9_vgpr10_vgpr11_vgpr12_vgpr13_vgpr14_vgpr15_vgpr16_vgpr17
	s_branch .LBB19_3
.LBB19_2:                               ;   in Loop: Header=BB19_3 Depth=1
	s_or_b64 exec, exec, s[0:1]
	s_add_i32 s42, s42, -1
	s_cmp_eq_u32 s42, 0
	v_add_u32_e32 v0, s36, v0
	s_cbranch_scc1 .LBB19_67
.LBB19_3:                               ; =>This Inner Loop Header: Depth=1
	v_cmp_gt_i32_e32 vcc, s37, v0
	v_ashrrev_i32_e32 v1, 31, v0
	s_and_saveexec_b64 s[2:3], vcc
	s_cbranch_execz .LBB19_5
; %bb.4:                                ;   in Loop: Header=BB19_3 Depth=1
	v_lshlrev_b64 v[18:19], 2, v[0:1]
	s_waitcnt vmcnt(0)
	v_mov_b32_e32 v2, s39
	v_add_co_u32_e64 v18, s[0:1], s38, v18
	v_addc_co_u32_e64 v19, s[0:1], v2, v19, s[0:1]
	global_load_dword v2, v[18:19], off
.LBB19_5:                               ;   in Loop: Header=BB19_3 Depth=1
	s_or_b64 exec, exec, s[2:3]
	v_add_u32_e32 v18, s33, v0
	v_cmp_gt_i32_e64 s[0:1], s37, v18
	v_ashrrev_i32_e32 v19, 31, v18
	s_and_saveexec_b64 s[4:5], s[0:1]
	s_cbranch_execz .LBB19_7
; %bb.6:                                ;   in Loop: Header=BB19_3 Depth=1
	v_lshlrev_b64 v[20:21], 2, v[18:19]
	s_waitcnt vmcnt(0)
	v_mov_b32_e32 v3, s39
	v_add_co_u32_e64 v20, s[2:3], s38, v20
	v_addc_co_u32_e64 v21, s[2:3], v3, v21, s[2:3]
	global_load_dword v3, v[20:21], off
.LBB19_7:                               ;   in Loop: Header=BB19_3 Depth=1
	s_or_b64 exec, exec, s[4:5]
	v_add_u32_e32 v20, s43, v0
	v_add_u32_e32 v23, s33, v18
	v_cmp_gt_i32_e64 s[2:3], s37, v23
	v_ashrrev_i32_e32 v21, 31, v20
	s_and_saveexec_b64 s[6:7], s[2:3]
	s_cbranch_execz .LBB19_9
; %bb.8:                                ;   in Loop: Header=BB19_3 Depth=1
	v_lshlrev_b64 v[24:25], 2, v[20:21]
	s_waitcnt vmcnt(0)
	v_mov_b32_e32 v4, s39
	v_add_co_u32_e64 v24, s[4:5], s38, v24
	v_addc_co_u32_e64 v25, s[4:5], v4, v25, s[4:5]
	global_load_dword v4, v[24:25], off
.LBB19_9:                               ;   in Loop: Header=BB19_3 Depth=1
	s_or_b64 exec, exec, s[6:7]
	v_add_u32_e32 v22, s44, v0
	v_add_u32_e32 v25, s33, v23
	v_cmp_gt_i32_e64 s[4:5], s37, v25
	v_ashrrev_i32_e32 v23, 31, v22
	s_and_saveexec_b64 s[8:9], s[4:5]
	s_cbranch_execz .LBB19_11
; %bb.10:                               ;   in Loop: Header=BB19_3 Depth=1
	v_lshlrev_b64 v[26:27], 2, v[22:23]
	s_waitcnt vmcnt(0)
	v_mov_b32_e32 v5, s39
	v_add_co_u32_e64 v26, s[6:7], s38, v26
	v_addc_co_u32_e64 v27, s[6:7], v5, v27, s[6:7]
	global_load_dword v5, v[26:27], off
.LBB19_11:                              ;   in Loop: Header=BB19_3 Depth=1
	s_or_b64 exec, exec, s[8:9]
	v_add_u32_e32 v24, s45, v0
	v_add_u32_e32 v27, s33, v25
	v_cmp_gt_i32_e64 s[6:7], s37, v27
	v_ashrrev_i32_e32 v25, 31, v24
	s_and_saveexec_b64 s[10:11], s[6:7]
	s_cbranch_execz .LBB19_13
; %bb.12:                               ;   in Loop: Header=BB19_3 Depth=1
	v_lshlrev_b64 v[28:29], 2, v[24:25]
	s_waitcnt vmcnt(0)
	v_mov_b32_e32 v6, s39
	v_add_co_u32_e64 v28, s[8:9], s38, v28
	v_addc_co_u32_e64 v29, s[8:9], v6, v29, s[8:9]
	global_load_dword v6, v[28:29], off
.LBB19_13:                              ;   in Loop: Header=BB19_3 Depth=1
	;; [unrolled: 15-line block ×12, first 2 shown]
	s_or_b64 exec, exec, s[30:31]
	v_add_u32_e32 v46, s56, v0
	v_add_u32_e32 v47, s33, v47
	v_cmp_gt_i32_e64 s[28:29], s37, v47
	v_ashrrev_i32_e32 v47, 31, v46
	s_and_saveexec_b64 s[34:35], s[28:29]
	s_cbranch_execnz .LBB19_50
; %bb.34:                               ;   in Loop: Header=BB19_3 Depth=1
	s_or_b64 exec, exec, s[34:35]
	s_and_saveexec_b64 s[30:31], vcc
	s_cbranch_execnz .LBB19_51
.LBB19_35:                              ;   in Loop: Header=BB19_3 Depth=1
	s_or_b64 exec, exec, s[30:31]
	s_and_saveexec_b64 s[30:31], s[0:1]
	s_cbranch_execnz .LBB19_52
.LBB19_36:                              ;   in Loop: Header=BB19_3 Depth=1
	s_or_b64 exec, exec, s[30:31]
	s_and_saveexec_b64 s[0:1], s[2:3]
	s_cbranch_execnz .LBB19_53
.LBB19_37:                              ;   in Loop: Header=BB19_3 Depth=1
	s_or_b64 exec, exec, s[0:1]
	s_and_saveexec_b64 s[0:1], s[4:5]
	s_cbranch_execnz .LBB19_54
.LBB19_38:                              ;   in Loop: Header=BB19_3 Depth=1
	s_or_b64 exec, exec, s[0:1]
	s_and_saveexec_b64 s[0:1], s[6:7]
	s_cbranch_execnz .LBB19_55
.LBB19_39:                              ;   in Loop: Header=BB19_3 Depth=1
	s_or_b64 exec, exec, s[0:1]
	s_and_saveexec_b64 s[0:1], s[8:9]
	s_cbranch_execnz .LBB19_56
.LBB19_40:                              ;   in Loop: Header=BB19_3 Depth=1
	s_or_b64 exec, exec, s[0:1]
	s_and_saveexec_b64 s[0:1], s[10:11]
	s_cbranch_execnz .LBB19_57
.LBB19_41:                              ;   in Loop: Header=BB19_3 Depth=1
	s_or_b64 exec, exec, s[0:1]
	s_and_saveexec_b64 s[0:1], s[12:13]
	s_cbranch_execnz .LBB19_58
.LBB19_42:                              ;   in Loop: Header=BB19_3 Depth=1
	s_or_b64 exec, exec, s[0:1]
	s_and_saveexec_b64 s[0:1], s[14:15]
	s_cbranch_execnz .LBB19_59
.LBB19_43:                              ;   in Loop: Header=BB19_3 Depth=1
	s_or_b64 exec, exec, s[0:1]
	s_and_saveexec_b64 s[0:1], s[16:17]
	s_cbranch_execnz .LBB19_60
.LBB19_44:                              ;   in Loop: Header=BB19_3 Depth=1
	s_or_b64 exec, exec, s[0:1]
	s_and_saveexec_b64 s[0:1], s[18:19]
	s_cbranch_execnz .LBB19_61
.LBB19_45:                              ;   in Loop: Header=BB19_3 Depth=1
	s_or_b64 exec, exec, s[0:1]
	s_and_saveexec_b64 s[0:1], s[20:21]
	s_cbranch_execnz .LBB19_62
.LBB19_46:                              ;   in Loop: Header=BB19_3 Depth=1
	s_or_b64 exec, exec, s[0:1]
	s_and_saveexec_b64 s[0:1], s[22:23]
	s_cbranch_execnz .LBB19_63
.LBB19_47:                              ;   in Loop: Header=BB19_3 Depth=1
	s_or_b64 exec, exec, s[0:1]
	s_and_saveexec_b64 s[0:1], s[24:25]
	s_cbranch_execnz .LBB19_64
.LBB19_48:                              ;   in Loop: Header=BB19_3 Depth=1
	s_or_b64 exec, exec, s[0:1]
	s_and_saveexec_b64 s[0:1], s[26:27]
	s_cbranch_execnz .LBB19_65
.LBB19_49:                              ;   in Loop: Header=BB19_3 Depth=1
	s_or_b64 exec, exec, s[0:1]
	s_and_saveexec_b64 s[0:1], s[28:29]
	s_cbranch_execz .LBB19_2
	s_branch .LBB19_66
.LBB19_50:                              ;   in Loop: Header=BB19_3 Depth=1
	v_lshlrev_b64 v[48:49], 2, v[46:47]
	s_waitcnt vmcnt(0)
	v_mov_b32_e32 v17, s39
	v_add_co_u32_e64 v48, s[30:31], s38, v48
	v_addc_co_u32_e64 v49, s[30:31], v17, v49, s[30:31]
	global_load_dword v17, v[48:49], off
	s_or_b64 exec, exec, s[34:35]
	s_and_saveexec_b64 s[30:31], vcc
	s_cbranch_execz .LBB19_35
.LBB19_51:                              ;   in Loop: Header=BB19_3 Depth=1
	v_lshlrev_b64 v[48:49], 2, v[0:1]
	v_mov_b32_e32 v1, s41
	v_add_co_u32_e32 v48, vcc, s40, v48
	v_addc_co_u32_e32 v49, vcc, v1, v49, vcc
	s_waitcnt vmcnt(0)
	global_store_dword v[48:49], v2, off
	s_or_b64 exec, exec, s[30:31]
	s_and_saveexec_b64 s[30:31], s[0:1]
	s_cbranch_execz .LBB19_36
.LBB19_52:                              ;   in Loop: Header=BB19_3 Depth=1
	v_lshlrev_b64 v[18:19], 2, v[18:19]
	v_mov_b32_e32 v1, s41
	v_add_co_u32_e32 v18, vcc, s40, v18
	v_addc_co_u32_e32 v19, vcc, v1, v19, vcc
	s_waitcnt vmcnt(0)
	global_store_dword v[18:19], v3, off
	s_or_b64 exec, exec, s[30:31]
	s_and_saveexec_b64 s[0:1], s[2:3]
	s_cbranch_execz .LBB19_37
.LBB19_53:                              ;   in Loop: Header=BB19_3 Depth=1
	v_lshlrev_b64 v[18:19], 2, v[20:21]
	v_mov_b32_e32 v1, s41
	v_add_co_u32_e32 v18, vcc, s40, v18
	v_addc_co_u32_e32 v19, vcc, v1, v19, vcc
	s_waitcnt vmcnt(0)
	global_store_dword v[18:19], v4, off
	s_or_b64 exec, exec, s[0:1]
	s_and_saveexec_b64 s[0:1], s[4:5]
	s_cbranch_execz .LBB19_38
.LBB19_54:                              ;   in Loop: Header=BB19_3 Depth=1
	v_lshlrev_b64 v[18:19], 2, v[22:23]
	v_mov_b32_e32 v1, s41
	v_add_co_u32_e32 v18, vcc, s40, v18
	v_addc_co_u32_e32 v19, vcc, v1, v19, vcc
	s_waitcnt vmcnt(0)
	global_store_dword v[18:19], v5, off
	s_or_b64 exec, exec, s[0:1]
	s_and_saveexec_b64 s[0:1], s[6:7]
	s_cbranch_execz .LBB19_39
.LBB19_55:                              ;   in Loop: Header=BB19_3 Depth=1
	v_lshlrev_b64 v[18:19], 2, v[24:25]
	v_mov_b32_e32 v1, s41
	v_add_co_u32_e32 v18, vcc, s40, v18
	v_addc_co_u32_e32 v19, vcc, v1, v19, vcc
	s_waitcnt vmcnt(0)
	global_store_dword v[18:19], v6, off
	s_or_b64 exec, exec, s[0:1]
	s_and_saveexec_b64 s[0:1], s[8:9]
	s_cbranch_execz .LBB19_40
.LBB19_56:                              ;   in Loop: Header=BB19_3 Depth=1
	v_lshlrev_b64 v[18:19], 2, v[26:27]
	v_mov_b32_e32 v1, s41
	v_add_co_u32_e32 v18, vcc, s40, v18
	v_addc_co_u32_e32 v19, vcc, v1, v19, vcc
	s_waitcnt vmcnt(0)
	global_store_dword v[18:19], v7, off
	s_or_b64 exec, exec, s[0:1]
	s_and_saveexec_b64 s[0:1], s[10:11]
	s_cbranch_execz .LBB19_41
.LBB19_57:                              ;   in Loop: Header=BB19_3 Depth=1
	v_lshlrev_b64 v[18:19], 2, v[28:29]
	v_mov_b32_e32 v1, s41
	v_add_co_u32_e32 v18, vcc, s40, v18
	v_addc_co_u32_e32 v19, vcc, v1, v19, vcc
	s_waitcnt vmcnt(0)
	global_store_dword v[18:19], v8, off
	s_or_b64 exec, exec, s[0:1]
	s_and_saveexec_b64 s[0:1], s[12:13]
	s_cbranch_execz .LBB19_42
.LBB19_58:                              ;   in Loop: Header=BB19_3 Depth=1
	v_lshlrev_b64 v[18:19], 2, v[30:31]
	v_mov_b32_e32 v1, s41
	v_add_co_u32_e32 v18, vcc, s40, v18
	v_addc_co_u32_e32 v19, vcc, v1, v19, vcc
	s_waitcnt vmcnt(0)
	global_store_dword v[18:19], v9, off
	s_or_b64 exec, exec, s[0:1]
	s_and_saveexec_b64 s[0:1], s[14:15]
	s_cbranch_execz .LBB19_43
.LBB19_59:                              ;   in Loop: Header=BB19_3 Depth=1
	v_lshlrev_b64 v[18:19], 2, v[32:33]
	v_mov_b32_e32 v1, s41
	v_add_co_u32_e32 v18, vcc, s40, v18
	v_addc_co_u32_e32 v19, vcc, v1, v19, vcc
	s_waitcnt vmcnt(0)
	global_store_dword v[18:19], v10, off
	s_or_b64 exec, exec, s[0:1]
	s_and_saveexec_b64 s[0:1], s[16:17]
	s_cbranch_execz .LBB19_44
.LBB19_60:                              ;   in Loop: Header=BB19_3 Depth=1
	v_lshlrev_b64 v[18:19], 2, v[34:35]
	v_mov_b32_e32 v1, s41
	v_add_co_u32_e32 v18, vcc, s40, v18
	v_addc_co_u32_e32 v19, vcc, v1, v19, vcc
	s_waitcnt vmcnt(0)
	global_store_dword v[18:19], v11, off
	s_or_b64 exec, exec, s[0:1]
	s_and_saveexec_b64 s[0:1], s[18:19]
	s_cbranch_execz .LBB19_45
.LBB19_61:                              ;   in Loop: Header=BB19_3 Depth=1
	v_lshlrev_b64 v[18:19], 2, v[36:37]
	v_mov_b32_e32 v1, s41
	v_add_co_u32_e32 v18, vcc, s40, v18
	v_addc_co_u32_e32 v19, vcc, v1, v19, vcc
	s_waitcnt vmcnt(0)
	global_store_dword v[18:19], v12, off
	s_or_b64 exec, exec, s[0:1]
	s_and_saveexec_b64 s[0:1], s[20:21]
	s_cbranch_execz .LBB19_46
.LBB19_62:                              ;   in Loop: Header=BB19_3 Depth=1
	v_lshlrev_b64 v[18:19], 2, v[38:39]
	v_mov_b32_e32 v1, s41
	v_add_co_u32_e32 v18, vcc, s40, v18
	v_addc_co_u32_e32 v19, vcc, v1, v19, vcc
	s_waitcnt vmcnt(0)
	global_store_dword v[18:19], v13, off
	s_or_b64 exec, exec, s[0:1]
	s_and_saveexec_b64 s[0:1], s[22:23]
	s_cbranch_execz .LBB19_47
.LBB19_63:                              ;   in Loop: Header=BB19_3 Depth=1
	v_lshlrev_b64 v[18:19], 2, v[40:41]
	v_mov_b32_e32 v1, s41
	v_add_co_u32_e32 v18, vcc, s40, v18
	v_addc_co_u32_e32 v19, vcc, v1, v19, vcc
	s_waitcnt vmcnt(0)
	global_store_dword v[18:19], v14, off
	s_or_b64 exec, exec, s[0:1]
	s_and_saveexec_b64 s[0:1], s[24:25]
	s_cbranch_execz .LBB19_48
.LBB19_64:                              ;   in Loop: Header=BB19_3 Depth=1
	v_lshlrev_b64 v[18:19], 2, v[42:43]
	v_mov_b32_e32 v1, s41
	v_add_co_u32_e32 v18, vcc, s40, v18
	v_addc_co_u32_e32 v19, vcc, v1, v19, vcc
	s_waitcnt vmcnt(0)
	global_store_dword v[18:19], v15, off
	s_or_b64 exec, exec, s[0:1]
	s_and_saveexec_b64 s[0:1], s[26:27]
	s_cbranch_execz .LBB19_49
.LBB19_65:                              ;   in Loop: Header=BB19_3 Depth=1
	v_lshlrev_b64 v[18:19], 2, v[44:45]
	v_mov_b32_e32 v1, s41
	v_add_co_u32_e32 v18, vcc, s40, v18
	v_addc_co_u32_e32 v19, vcc, v1, v19, vcc
	s_waitcnt vmcnt(0)
	global_store_dword v[18:19], v16, off
	s_or_b64 exec, exec, s[0:1]
	s_and_saveexec_b64 s[0:1], s[28:29]
	s_cbranch_execz .LBB19_2
.LBB19_66:                              ;   in Loop: Header=BB19_3 Depth=1
	v_lshlrev_b64 v[18:19], 2, v[46:47]
	v_mov_b32_e32 v1, s41
	v_add_co_u32_e32 v18, vcc, s40, v18
	v_addc_co_u32_e32 v19, vcc, v1, v19, vcc
	s_waitcnt vmcnt(0)
	global_store_dword v[18:19], v17, off
	s_branch .LBB19_2
.LBB19_67:
	s_endpgm
	.section	.rodata,"a",@progbits
	.p2align	6, 0x0
	.amdhsa_kernel _ZN9rocsolver6v33100L11stedc_copyCIfPfS2_EEviT0_iilT1_iil
		.amdhsa_group_segment_fixed_size 0
		.amdhsa_private_segment_fixed_size 0
		.amdhsa_kernarg_size 312
		.amdhsa_user_sgpr_count 6
		.amdhsa_user_sgpr_private_segment_buffer 1
		.amdhsa_user_sgpr_dispatch_ptr 0
		.amdhsa_user_sgpr_queue_ptr 0
		.amdhsa_user_sgpr_kernarg_segment_ptr 1
		.amdhsa_user_sgpr_dispatch_id 0
		.amdhsa_user_sgpr_flat_scratch_init 0
		.amdhsa_user_sgpr_kernarg_preload_length 0
		.amdhsa_user_sgpr_kernarg_preload_offset 0
		.amdhsa_user_sgpr_private_segment_size 0
		.amdhsa_uses_dynamic_stack 0
		.amdhsa_system_sgpr_private_segment_wavefront_offset 0
		.amdhsa_system_sgpr_workgroup_id_x 1
		.amdhsa_system_sgpr_workgroup_id_y 1
		.amdhsa_system_sgpr_workgroup_id_z 0
		.amdhsa_system_sgpr_workgroup_info 0
		.amdhsa_system_vgpr_workitem_id 0
		.amdhsa_next_free_vgpr 50
		.amdhsa_next_free_sgpr 57
		.amdhsa_accum_offset 52
		.amdhsa_reserve_vcc 1
		.amdhsa_reserve_flat_scratch 0
		.amdhsa_float_round_mode_32 0
		.amdhsa_float_round_mode_16_64 0
		.amdhsa_float_denorm_mode_32 3
		.amdhsa_float_denorm_mode_16_64 3
		.amdhsa_dx10_clamp 1
		.amdhsa_ieee_mode 1
		.amdhsa_fp16_overflow 0
		.amdhsa_tg_split 0
		.amdhsa_exception_fp_ieee_invalid_op 0
		.amdhsa_exception_fp_denorm_src 0
		.amdhsa_exception_fp_ieee_div_zero 0
		.amdhsa_exception_fp_ieee_overflow 0
		.amdhsa_exception_fp_ieee_underflow 0
		.amdhsa_exception_fp_ieee_inexact 0
		.amdhsa_exception_int_div_zero 0
	.end_amdhsa_kernel
	.section	.text._ZN9rocsolver6v33100L11stedc_copyCIfPfS2_EEviT0_iilT1_iil,"axG",@progbits,_ZN9rocsolver6v33100L11stedc_copyCIfPfS2_EEviT0_iilT1_iil,comdat
.Lfunc_end19:
	.size	_ZN9rocsolver6v33100L11stedc_copyCIfPfS2_EEviT0_iilT1_iil, .Lfunc_end19-_ZN9rocsolver6v33100L11stedc_copyCIfPfS2_EEviT0_iilT1_iil
                                        ; -- End function
	.section	.AMDGPU.csdata,"",@progbits
; Kernel info:
; codeLenInByte = 2444
; NumSgprs: 61
; NumVgprs: 50
; NumAgprs: 0
; TotalNumVgprs: 50
; ScratchSize: 0
; MemoryBound: 0
; FloatMode: 240
; IeeeMode: 1
; LDSByteSize: 0 bytes/workgroup (compile time only)
; SGPRBlocks: 7
; VGPRBlocks: 6
; NumSGPRsForWavesPerEU: 61
; NumVGPRsForWavesPerEU: 50
; AccumOffset: 52
; Occupancy: 8
; WaveLimiterHint : 0
; COMPUTE_PGM_RSRC2:SCRATCH_EN: 0
; COMPUTE_PGM_RSRC2:USER_SGPR: 6
; COMPUTE_PGM_RSRC2:TRAP_HANDLER: 0
; COMPUTE_PGM_RSRC2:TGID_X_EN: 1
; COMPUTE_PGM_RSRC2:TGID_Y_EN: 1
; COMPUTE_PGM_RSRC2:TGID_Z_EN: 0
; COMPUTE_PGM_RSRC2:TIDIG_COMP_CNT: 0
; COMPUTE_PGM_RSRC3_GFX90A:ACCUM_OFFSET: 12
; COMPUTE_PGM_RSRC3_GFX90A:TG_SPLIT: 0
	.section	.text._ZN9rocsolver6v33100L16stedc_reshuffleCIfPfS2_EEviT0_iilT1_iilPi,"axG",@progbits,_ZN9rocsolver6v33100L16stedc_reshuffleCIfPfS2_EEviT0_iilT1_iilPi,comdat
	.globl	_ZN9rocsolver6v33100L16stedc_reshuffleCIfPfS2_EEviT0_iilT1_iilPi ; -- Begin function _ZN9rocsolver6v33100L16stedc_reshuffleCIfPfS2_EEviT0_iilT1_iilPi
	.p2align	8
	.type	_ZN9rocsolver6v33100L16stedc_reshuffleCIfPfS2_EEviT0_iilT1_iilPi,@function
_ZN9rocsolver6v33100L16stedc_reshuffleCIfPfS2_EEviT0_iilT1_iilPi: ; @_ZN9rocsolver6v33100L16stedc_reshuffleCIfPfS2_EEviT0_iilT1_iilPi
; %bb.0:
	s_load_dword s0, s[4:5], 0x4c
	s_load_dword s37, s[4:5], 0x0
	s_waitcnt lgkmcnt(0)
	s_and_b32 s33, s0, 0xffff
	s_lshl_b32 s36, s33, 4
	v_cvt_f32_u32_e32 v1, s36
	s_sub_i32 s2, 0, s36
	s_add_i32 s0, s37, -1
	s_ashr_i32 s1, s0, 31
	v_rcp_iflag_f32_e32 v1, v1
	s_abs_i32 s0, s0
	v_mul_f32_e32 v1, 0x4f7ffffe, v1
	v_cvt_u32_f32_e32 v1, v1
	v_readfirstlane_b32 s3, v1
	s_mul_i32 s2, s2, s3
	s_mul_hi_u32 s2, s3, s2
	s_add_i32 s3, s3, s2
	s_mul_hi_u32 s2, s0, s3
	s_mul_i32 s3, s2, s36
	s_sub_i32 s0, s0, s3
	s_add_i32 s8, s2, 1
	s_sub_i32 s3, s0, s36
	s_cmp_ge_u32 s0, s36
	s_cselect_b32 s2, s8, s2
	s_cselect_b32 s0, s3, s0
	s_add_i32 s3, s2, 1
	s_cmp_ge_u32 s0, s36
	s_cselect_b32 s0, s3, s2
	s_xor_b32 s0, s0, s1
	s_sub_i32 s16, s0, s1
	s_cmp_lt_i32 s16, 0
	s_cbranch_scc1 .LBB20_67
; %bb.1:
	s_load_dwordx8 s[8:15], s[4:5], 0x8
	s_load_dwordx2 s[18:19], s[4:5], 0x28
	s_load_dwordx4 s[0:3], s[4:5], 0x30
	s_mul_i32 s4, s7, s37
	s_mul_i32 s4, s4, 13
	s_ashr_i32 s5, s4, 31
	s_lshl_b64 s[4:5], s[4:5], 2
	s_waitcnt lgkmcnt(0)
	s_add_u32 s4, s2, s4
	s_mul_i32 s2, s37, 10
	s_addc_u32 s5, s3, s5
	s_ashr_i32 s3, s2, 31
	s_lshl_b64 s[2:3], s[2:3], 2
	s_add_u32 s4, s4, s2
	s_addc_u32 s5, s5, s3
	s_mov_b32 s17, s7
	s_ashr_i32 s7, s6, 31
	s_lshl_b64 s[2:3], s[6:7], 2
	s_add_u32 s2, s4, s2
	s_addc_u32 s3, s5, s3
	s_load_dword s7, s[2:3], 0x0
	s_ashr_i32 s3, s10, 31
	s_mov_b32 s2, s10
	s_ashr_i32 s10, s17, 31
	s_mul_i32 s4, s17, s13
	s_mul_hi_u32 s5, s17, s12
	s_add_i32 s4, s5, s4
	s_mul_i32 s5, s10, s12
	s_add_i32 s5, s4, s5
	s_mul_i32 s4, s17, s12
	s_lshl_b64 s[4:5], s[4:5], 2
	s_add_u32 s4, s8, s4
	s_addc_u32 s5, s9, s5
	s_lshl_b64 s[2:3], s[2:3], 2
	s_add_u32 s4, s4, s2
	s_mul_i32 s1, s17, s1
	s_mul_hi_u32 s8, s17, s0
	s_addc_u32 s5, s5, s3
	s_add_i32 s1, s8, s1
	s_mul_i32 s10, s10, s0
	s_add_i32 s1, s1, s10
	s_mul_i32 s0, s17, s0
	s_ashr_i32 s3, s18, 31
	s_lshl_b64 s[0:1], s[0:1], 2
	s_mov_b32 s2, s18
	s_add_u32 s8, s14, s0
	s_addc_u32 s9, s15, s1
	s_lshl_b64 s[0:1], s[2:3], 2
	s_add_u32 s2, s8, s0
	s_waitcnt lgkmcnt(0)
	s_mul_i32 s0, s7, s11
	s_addc_u32 s3, s9, s1
	s_ashr_i32 s1, s0, 31
	s_lshl_b64 s[0:1], s[0:1], 2
	s_add_u32 s38, s4, s0
	s_mul_i32 s0, s6, s19
	s_addc_u32 s39, s5, s1
	s_ashr_i32 s1, s0, 31
	s_lshl_b64 s[0:1], s[0:1], 2
	s_add_u32 s40, s2, s0
	s_addc_u32 s41, s3, s1
	s_add_i32 s42, s16, 1
	s_lshl_b32 s43, s33, 1
	s_mul_i32 s44, s33, 3
	s_lshl_b32 s45, s33, 2
	s_mul_i32 s46, s33, 5
	s_mul_i32 s47, s33, 6
	;; [unrolled: 1-line block ×3, first 2 shown]
	s_lshl_b32 s49, s33, 3
	s_mul_i32 s50, s33, 9
	s_mul_i32 s51, s33, 10
	;; [unrolled: 1-line block ×7, first 2 shown]
                                        ; implicit-def: $vgpr2_vgpr3_vgpr4_vgpr5_vgpr6_vgpr7_vgpr8_vgpr9_vgpr10_vgpr11_vgpr12_vgpr13_vgpr14_vgpr15_vgpr16_vgpr17
	s_branch .LBB20_3
.LBB20_2:                               ;   in Loop: Header=BB20_3 Depth=1
	s_or_b64 exec, exec, s[0:1]
	s_add_i32 s42, s42, -1
	s_cmp_eq_u32 s42, 0
	v_add_u32_e32 v0, s36, v0
	s_cbranch_scc1 .LBB20_67
.LBB20_3:                               ; =>This Inner Loop Header: Depth=1
	v_cmp_gt_i32_e32 vcc, s37, v0
	v_ashrrev_i32_e32 v1, 31, v0
	s_and_saveexec_b64 s[2:3], vcc
	s_cbranch_execz .LBB20_5
; %bb.4:                                ;   in Loop: Header=BB20_3 Depth=1
	v_lshlrev_b64 v[18:19], 2, v[0:1]
	s_waitcnt vmcnt(0)
	v_mov_b32_e32 v2, s39
	v_add_co_u32_e64 v18, s[0:1], s38, v18
	v_addc_co_u32_e64 v19, s[0:1], v2, v19, s[0:1]
	global_load_dword v2, v[18:19], off
.LBB20_5:                               ;   in Loop: Header=BB20_3 Depth=1
	s_or_b64 exec, exec, s[2:3]
	v_add_u32_e32 v18, s33, v0
	v_cmp_gt_i32_e64 s[0:1], s37, v18
	v_ashrrev_i32_e32 v19, 31, v18
	s_and_saveexec_b64 s[4:5], s[0:1]
	s_cbranch_execz .LBB20_7
; %bb.6:                                ;   in Loop: Header=BB20_3 Depth=1
	v_lshlrev_b64 v[20:21], 2, v[18:19]
	s_waitcnt vmcnt(0)
	v_mov_b32_e32 v3, s39
	v_add_co_u32_e64 v20, s[2:3], s38, v20
	v_addc_co_u32_e64 v21, s[2:3], v3, v21, s[2:3]
	global_load_dword v3, v[20:21], off
.LBB20_7:                               ;   in Loop: Header=BB20_3 Depth=1
	s_or_b64 exec, exec, s[4:5]
	v_add_u32_e32 v20, s43, v0
	v_add_u32_e32 v23, s33, v18
	v_cmp_gt_i32_e64 s[2:3], s37, v23
	v_ashrrev_i32_e32 v21, 31, v20
	s_and_saveexec_b64 s[6:7], s[2:3]
	s_cbranch_execz .LBB20_9
; %bb.8:                                ;   in Loop: Header=BB20_3 Depth=1
	v_lshlrev_b64 v[24:25], 2, v[20:21]
	s_waitcnt vmcnt(0)
	v_mov_b32_e32 v4, s39
	v_add_co_u32_e64 v24, s[4:5], s38, v24
	v_addc_co_u32_e64 v25, s[4:5], v4, v25, s[4:5]
	global_load_dword v4, v[24:25], off
.LBB20_9:                               ;   in Loop: Header=BB20_3 Depth=1
	s_or_b64 exec, exec, s[6:7]
	v_add_u32_e32 v22, s44, v0
	v_add_u32_e32 v25, s33, v23
	v_cmp_gt_i32_e64 s[4:5], s37, v25
	v_ashrrev_i32_e32 v23, 31, v22
	s_and_saveexec_b64 s[8:9], s[4:5]
	s_cbranch_execz .LBB20_11
; %bb.10:                               ;   in Loop: Header=BB20_3 Depth=1
	v_lshlrev_b64 v[26:27], 2, v[22:23]
	s_waitcnt vmcnt(0)
	v_mov_b32_e32 v5, s39
	v_add_co_u32_e64 v26, s[6:7], s38, v26
	v_addc_co_u32_e64 v27, s[6:7], v5, v27, s[6:7]
	global_load_dword v5, v[26:27], off
.LBB20_11:                              ;   in Loop: Header=BB20_3 Depth=1
	s_or_b64 exec, exec, s[8:9]
	v_add_u32_e32 v24, s45, v0
	v_add_u32_e32 v27, s33, v25
	v_cmp_gt_i32_e64 s[6:7], s37, v27
	v_ashrrev_i32_e32 v25, 31, v24
	s_and_saveexec_b64 s[10:11], s[6:7]
	s_cbranch_execz .LBB20_13
; %bb.12:                               ;   in Loop: Header=BB20_3 Depth=1
	v_lshlrev_b64 v[28:29], 2, v[24:25]
	s_waitcnt vmcnt(0)
	v_mov_b32_e32 v6, s39
	v_add_co_u32_e64 v28, s[8:9], s38, v28
	v_addc_co_u32_e64 v29, s[8:9], v6, v29, s[8:9]
	global_load_dword v6, v[28:29], off
.LBB20_13:                              ;   in Loop: Header=BB20_3 Depth=1
	;; [unrolled: 15-line block ×12, first 2 shown]
	s_or_b64 exec, exec, s[30:31]
	v_add_u32_e32 v46, s56, v0
	v_add_u32_e32 v47, s33, v47
	v_cmp_gt_i32_e64 s[28:29], s37, v47
	v_ashrrev_i32_e32 v47, 31, v46
	s_and_saveexec_b64 s[34:35], s[28:29]
	s_cbranch_execnz .LBB20_50
; %bb.34:                               ;   in Loop: Header=BB20_3 Depth=1
	s_or_b64 exec, exec, s[34:35]
	s_and_saveexec_b64 s[30:31], vcc
	s_cbranch_execnz .LBB20_51
.LBB20_35:                              ;   in Loop: Header=BB20_3 Depth=1
	s_or_b64 exec, exec, s[30:31]
	s_and_saveexec_b64 s[30:31], s[0:1]
	s_cbranch_execnz .LBB20_52
.LBB20_36:                              ;   in Loop: Header=BB20_3 Depth=1
	s_or_b64 exec, exec, s[30:31]
	s_and_saveexec_b64 s[0:1], s[2:3]
	s_cbranch_execnz .LBB20_53
.LBB20_37:                              ;   in Loop: Header=BB20_3 Depth=1
	s_or_b64 exec, exec, s[0:1]
	s_and_saveexec_b64 s[0:1], s[4:5]
	s_cbranch_execnz .LBB20_54
.LBB20_38:                              ;   in Loop: Header=BB20_3 Depth=1
	s_or_b64 exec, exec, s[0:1]
	s_and_saveexec_b64 s[0:1], s[6:7]
	s_cbranch_execnz .LBB20_55
.LBB20_39:                              ;   in Loop: Header=BB20_3 Depth=1
	s_or_b64 exec, exec, s[0:1]
	s_and_saveexec_b64 s[0:1], s[8:9]
	s_cbranch_execnz .LBB20_56
.LBB20_40:                              ;   in Loop: Header=BB20_3 Depth=1
	s_or_b64 exec, exec, s[0:1]
	s_and_saveexec_b64 s[0:1], s[10:11]
	s_cbranch_execnz .LBB20_57
.LBB20_41:                              ;   in Loop: Header=BB20_3 Depth=1
	s_or_b64 exec, exec, s[0:1]
	s_and_saveexec_b64 s[0:1], s[12:13]
	s_cbranch_execnz .LBB20_58
.LBB20_42:                              ;   in Loop: Header=BB20_3 Depth=1
	s_or_b64 exec, exec, s[0:1]
	s_and_saveexec_b64 s[0:1], s[14:15]
	s_cbranch_execnz .LBB20_59
.LBB20_43:                              ;   in Loop: Header=BB20_3 Depth=1
	s_or_b64 exec, exec, s[0:1]
	s_and_saveexec_b64 s[0:1], s[16:17]
	s_cbranch_execnz .LBB20_60
.LBB20_44:                              ;   in Loop: Header=BB20_3 Depth=1
	s_or_b64 exec, exec, s[0:1]
	s_and_saveexec_b64 s[0:1], s[18:19]
	s_cbranch_execnz .LBB20_61
.LBB20_45:                              ;   in Loop: Header=BB20_3 Depth=1
	s_or_b64 exec, exec, s[0:1]
	s_and_saveexec_b64 s[0:1], s[20:21]
	s_cbranch_execnz .LBB20_62
.LBB20_46:                              ;   in Loop: Header=BB20_3 Depth=1
	s_or_b64 exec, exec, s[0:1]
	s_and_saveexec_b64 s[0:1], s[22:23]
	s_cbranch_execnz .LBB20_63
.LBB20_47:                              ;   in Loop: Header=BB20_3 Depth=1
	s_or_b64 exec, exec, s[0:1]
	s_and_saveexec_b64 s[0:1], s[24:25]
	s_cbranch_execnz .LBB20_64
.LBB20_48:                              ;   in Loop: Header=BB20_3 Depth=1
	s_or_b64 exec, exec, s[0:1]
	s_and_saveexec_b64 s[0:1], s[26:27]
	s_cbranch_execnz .LBB20_65
.LBB20_49:                              ;   in Loop: Header=BB20_3 Depth=1
	s_or_b64 exec, exec, s[0:1]
	s_and_saveexec_b64 s[0:1], s[28:29]
	s_cbranch_execz .LBB20_2
	s_branch .LBB20_66
.LBB20_50:                              ;   in Loop: Header=BB20_3 Depth=1
	v_lshlrev_b64 v[48:49], 2, v[46:47]
	s_waitcnt vmcnt(0)
	v_mov_b32_e32 v17, s39
	v_add_co_u32_e64 v48, s[30:31], s38, v48
	v_addc_co_u32_e64 v49, s[30:31], v17, v49, s[30:31]
	global_load_dword v17, v[48:49], off
	s_or_b64 exec, exec, s[34:35]
	s_and_saveexec_b64 s[30:31], vcc
	s_cbranch_execz .LBB20_35
.LBB20_51:                              ;   in Loop: Header=BB20_3 Depth=1
	v_lshlrev_b64 v[48:49], 2, v[0:1]
	v_mov_b32_e32 v1, s41
	v_add_co_u32_e32 v48, vcc, s40, v48
	v_addc_co_u32_e32 v49, vcc, v1, v49, vcc
	s_waitcnt vmcnt(0)
	global_store_dword v[48:49], v2, off
	s_or_b64 exec, exec, s[30:31]
	s_and_saveexec_b64 s[30:31], s[0:1]
	s_cbranch_execz .LBB20_36
.LBB20_52:                              ;   in Loop: Header=BB20_3 Depth=1
	v_lshlrev_b64 v[18:19], 2, v[18:19]
	v_mov_b32_e32 v1, s41
	v_add_co_u32_e32 v18, vcc, s40, v18
	v_addc_co_u32_e32 v19, vcc, v1, v19, vcc
	s_waitcnt vmcnt(0)
	global_store_dword v[18:19], v3, off
	s_or_b64 exec, exec, s[30:31]
	s_and_saveexec_b64 s[0:1], s[2:3]
	s_cbranch_execz .LBB20_37
.LBB20_53:                              ;   in Loop: Header=BB20_3 Depth=1
	v_lshlrev_b64 v[18:19], 2, v[20:21]
	v_mov_b32_e32 v1, s41
	v_add_co_u32_e32 v18, vcc, s40, v18
	v_addc_co_u32_e32 v19, vcc, v1, v19, vcc
	s_waitcnt vmcnt(0)
	global_store_dword v[18:19], v4, off
	s_or_b64 exec, exec, s[0:1]
	s_and_saveexec_b64 s[0:1], s[4:5]
	s_cbranch_execz .LBB20_38
.LBB20_54:                              ;   in Loop: Header=BB20_3 Depth=1
	v_lshlrev_b64 v[18:19], 2, v[22:23]
	v_mov_b32_e32 v1, s41
	v_add_co_u32_e32 v18, vcc, s40, v18
	v_addc_co_u32_e32 v19, vcc, v1, v19, vcc
	s_waitcnt vmcnt(0)
	global_store_dword v[18:19], v5, off
	s_or_b64 exec, exec, s[0:1]
	s_and_saveexec_b64 s[0:1], s[6:7]
	s_cbranch_execz .LBB20_39
.LBB20_55:                              ;   in Loop: Header=BB20_3 Depth=1
	v_lshlrev_b64 v[18:19], 2, v[24:25]
	v_mov_b32_e32 v1, s41
	v_add_co_u32_e32 v18, vcc, s40, v18
	v_addc_co_u32_e32 v19, vcc, v1, v19, vcc
	s_waitcnt vmcnt(0)
	global_store_dword v[18:19], v6, off
	s_or_b64 exec, exec, s[0:1]
	s_and_saveexec_b64 s[0:1], s[8:9]
	s_cbranch_execz .LBB20_40
.LBB20_56:                              ;   in Loop: Header=BB20_3 Depth=1
	v_lshlrev_b64 v[18:19], 2, v[26:27]
	v_mov_b32_e32 v1, s41
	v_add_co_u32_e32 v18, vcc, s40, v18
	v_addc_co_u32_e32 v19, vcc, v1, v19, vcc
	s_waitcnt vmcnt(0)
	global_store_dword v[18:19], v7, off
	s_or_b64 exec, exec, s[0:1]
	s_and_saveexec_b64 s[0:1], s[10:11]
	s_cbranch_execz .LBB20_41
.LBB20_57:                              ;   in Loop: Header=BB20_3 Depth=1
	v_lshlrev_b64 v[18:19], 2, v[28:29]
	v_mov_b32_e32 v1, s41
	v_add_co_u32_e32 v18, vcc, s40, v18
	v_addc_co_u32_e32 v19, vcc, v1, v19, vcc
	s_waitcnt vmcnt(0)
	global_store_dword v[18:19], v8, off
	s_or_b64 exec, exec, s[0:1]
	s_and_saveexec_b64 s[0:1], s[12:13]
	s_cbranch_execz .LBB20_42
.LBB20_58:                              ;   in Loop: Header=BB20_3 Depth=1
	v_lshlrev_b64 v[18:19], 2, v[30:31]
	v_mov_b32_e32 v1, s41
	v_add_co_u32_e32 v18, vcc, s40, v18
	v_addc_co_u32_e32 v19, vcc, v1, v19, vcc
	s_waitcnt vmcnt(0)
	global_store_dword v[18:19], v9, off
	s_or_b64 exec, exec, s[0:1]
	s_and_saveexec_b64 s[0:1], s[14:15]
	s_cbranch_execz .LBB20_43
.LBB20_59:                              ;   in Loop: Header=BB20_3 Depth=1
	v_lshlrev_b64 v[18:19], 2, v[32:33]
	v_mov_b32_e32 v1, s41
	v_add_co_u32_e32 v18, vcc, s40, v18
	v_addc_co_u32_e32 v19, vcc, v1, v19, vcc
	s_waitcnt vmcnt(0)
	global_store_dword v[18:19], v10, off
	s_or_b64 exec, exec, s[0:1]
	s_and_saveexec_b64 s[0:1], s[16:17]
	s_cbranch_execz .LBB20_44
.LBB20_60:                              ;   in Loop: Header=BB20_3 Depth=1
	v_lshlrev_b64 v[18:19], 2, v[34:35]
	v_mov_b32_e32 v1, s41
	v_add_co_u32_e32 v18, vcc, s40, v18
	v_addc_co_u32_e32 v19, vcc, v1, v19, vcc
	s_waitcnt vmcnt(0)
	global_store_dword v[18:19], v11, off
	s_or_b64 exec, exec, s[0:1]
	s_and_saveexec_b64 s[0:1], s[18:19]
	s_cbranch_execz .LBB20_45
.LBB20_61:                              ;   in Loop: Header=BB20_3 Depth=1
	v_lshlrev_b64 v[18:19], 2, v[36:37]
	v_mov_b32_e32 v1, s41
	v_add_co_u32_e32 v18, vcc, s40, v18
	v_addc_co_u32_e32 v19, vcc, v1, v19, vcc
	s_waitcnt vmcnt(0)
	global_store_dword v[18:19], v12, off
	s_or_b64 exec, exec, s[0:1]
	s_and_saveexec_b64 s[0:1], s[20:21]
	s_cbranch_execz .LBB20_46
.LBB20_62:                              ;   in Loop: Header=BB20_3 Depth=1
	v_lshlrev_b64 v[18:19], 2, v[38:39]
	v_mov_b32_e32 v1, s41
	v_add_co_u32_e32 v18, vcc, s40, v18
	v_addc_co_u32_e32 v19, vcc, v1, v19, vcc
	s_waitcnt vmcnt(0)
	global_store_dword v[18:19], v13, off
	s_or_b64 exec, exec, s[0:1]
	s_and_saveexec_b64 s[0:1], s[22:23]
	s_cbranch_execz .LBB20_47
.LBB20_63:                              ;   in Loop: Header=BB20_3 Depth=1
	v_lshlrev_b64 v[18:19], 2, v[40:41]
	v_mov_b32_e32 v1, s41
	v_add_co_u32_e32 v18, vcc, s40, v18
	v_addc_co_u32_e32 v19, vcc, v1, v19, vcc
	s_waitcnt vmcnt(0)
	global_store_dword v[18:19], v14, off
	s_or_b64 exec, exec, s[0:1]
	s_and_saveexec_b64 s[0:1], s[24:25]
	s_cbranch_execz .LBB20_48
.LBB20_64:                              ;   in Loop: Header=BB20_3 Depth=1
	v_lshlrev_b64 v[18:19], 2, v[42:43]
	v_mov_b32_e32 v1, s41
	v_add_co_u32_e32 v18, vcc, s40, v18
	v_addc_co_u32_e32 v19, vcc, v1, v19, vcc
	s_waitcnt vmcnt(0)
	global_store_dword v[18:19], v15, off
	s_or_b64 exec, exec, s[0:1]
	s_and_saveexec_b64 s[0:1], s[26:27]
	s_cbranch_execz .LBB20_49
.LBB20_65:                              ;   in Loop: Header=BB20_3 Depth=1
	v_lshlrev_b64 v[18:19], 2, v[44:45]
	v_mov_b32_e32 v1, s41
	v_add_co_u32_e32 v18, vcc, s40, v18
	v_addc_co_u32_e32 v19, vcc, v1, v19, vcc
	s_waitcnt vmcnt(0)
	global_store_dword v[18:19], v16, off
	s_or_b64 exec, exec, s[0:1]
	s_and_saveexec_b64 s[0:1], s[28:29]
	s_cbranch_execz .LBB20_2
.LBB20_66:                              ;   in Loop: Header=BB20_3 Depth=1
	v_lshlrev_b64 v[18:19], 2, v[46:47]
	v_mov_b32_e32 v1, s41
	v_add_co_u32_e32 v18, vcc, s40, v18
	v_addc_co_u32_e32 v19, vcc, v1, v19, vcc
	s_waitcnt vmcnt(0)
	global_store_dword v[18:19], v17, off
	s_branch .LBB20_2
.LBB20_67:
	s_endpgm
	.section	.rodata,"a",@progbits
	.p2align	6, 0x0
	.amdhsa_kernel _ZN9rocsolver6v33100L16stedc_reshuffleCIfPfS2_EEviT0_iilT1_iilPi
		.amdhsa_group_segment_fixed_size 0
		.amdhsa_private_segment_fixed_size 0
		.amdhsa_kernarg_size 320
		.amdhsa_user_sgpr_count 6
		.amdhsa_user_sgpr_private_segment_buffer 1
		.amdhsa_user_sgpr_dispatch_ptr 0
		.amdhsa_user_sgpr_queue_ptr 0
		.amdhsa_user_sgpr_kernarg_segment_ptr 1
		.amdhsa_user_sgpr_dispatch_id 0
		.amdhsa_user_sgpr_flat_scratch_init 0
		.amdhsa_user_sgpr_kernarg_preload_length 0
		.amdhsa_user_sgpr_kernarg_preload_offset 0
		.amdhsa_user_sgpr_private_segment_size 0
		.amdhsa_uses_dynamic_stack 0
		.amdhsa_system_sgpr_private_segment_wavefront_offset 0
		.amdhsa_system_sgpr_workgroup_id_x 1
		.amdhsa_system_sgpr_workgroup_id_y 1
		.amdhsa_system_sgpr_workgroup_id_z 0
		.amdhsa_system_sgpr_workgroup_info 0
		.amdhsa_system_vgpr_workitem_id 0
		.amdhsa_next_free_vgpr 50
		.amdhsa_next_free_sgpr 57
		.amdhsa_accum_offset 52
		.amdhsa_reserve_vcc 1
		.amdhsa_reserve_flat_scratch 0
		.amdhsa_float_round_mode_32 0
		.amdhsa_float_round_mode_16_64 0
		.amdhsa_float_denorm_mode_32 3
		.amdhsa_float_denorm_mode_16_64 3
		.amdhsa_dx10_clamp 1
		.amdhsa_ieee_mode 1
		.amdhsa_fp16_overflow 0
		.amdhsa_tg_split 0
		.amdhsa_exception_fp_ieee_invalid_op 0
		.amdhsa_exception_fp_denorm_src 0
		.amdhsa_exception_fp_ieee_div_zero 0
		.amdhsa_exception_fp_ieee_overflow 0
		.amdhsa_exception_fp_ieee_underflow 0
		.amdhsa_exception_fp_ieee_inexact 0
		.amdhsa_exception_int_div_zero 0
	.end_amdhsa_kernel
	.section	.text._ZN9rocsolver6v33100L16stedc_reshuffleCIfPfS2_EEviT0_iilT1_iilPi,"axG",@progbits,_ZN9rocsolver6v33100L16stedc_reshuffleCIfPfS2_EEviT0_iilT1_iilPi,comdat
.Lfunc_end20:
	.size	_ZN9rocsolver6v33100L16stedc_reshuffleCIfPfS2_EEviT0_iilT1_iilPi, .Lfunc_end20-_ZN9rocsolver6v33100L16stedc_reshuffleCIfPfS2_EEviT0_iilT1_iilPi
                                        ; -- End function
	.section	.AMDGPU.csdata,"",@progbits
; Kernel info:
; codeLenInByte = 2528
; NumSgprs: 61
; NumVgprs: 50
; NumAgprs: 0
; TotalNumVgprs: 50
; ScratchSize: 0
; MemoryBound: 0
; FloatMode: 240
; IeeeMode: 1
; LDSByteSize: 0 bytes/workgroup (compile time only)
; SGPRBlocks: 7
; VGPRBlocks: 6
; NumSGPRsForWavesPerEU: 61
; NumVGPRsForWavesPerEU: 50
; AccumOffset: 52
; Occupancy: 8
; WaveLimiterHint : 1
; COMPUTE_PGM_RSRC2:SCRATCH_EN: 0
; COMPUTE_PGM_RSRC2:USER_SGPR: 6
; COMPUTE_PGM_RSRC2:TRAP_HANDLER: 0
; COMPUTE_PGM_RSRC2:TGID_X_EN: 1
; COMPUTE_PGM_RSRC2:TGID_Y_EN: 1
; COMPUTE_PGM_RSRC2:TGID_Z_EN: 0
; COMPUTE_PGM_RSRC2:TIDIG_COMP_CNT: 0
; COMPUTE_PGM_RSRC3_GFX90A:ACCUM_OFFSET: 12
; COMPUTE_PGM_RSRC3_GFX90A:TG_SPLIT: 0
	.section	.text._ZN9rocsolver6v33100L30stedc_mergeValues_Solve_kernelIfEEviiPT_lS3_lS3_S3_PiS2_S2_S2_,"axG",@progbits,_ZN9rocsolver6v33100L30stedc_mergeValues_Solve_kernelIfEEviiPT_lS3_lS3_S3_PiS2_S2_S2_,comdat
	.globl	_ZN9rocsolver6v33100L30stedc_mergeValues_Solve_kernelIfEEviiPT_lS3_lS3_S3_PiS2_S2_S2_ ; -- Begin function _ZN9rocsolver6v33100L30stedc_mergeValues_Solve_kernelIfEEviiPT_lS3_lS3_S3_PiS2_S2_S2_
	.p2align	8
	.type	_ZN9rocsolver6v33100L30stedc_mergeValues_Solve_kernelIfEEviiPT_lS3_lS3_S3_PiS2_S2_S2_,@function
_ZN9rocsolver6v33100L30stedc_mergeValues_Solve_kernelIfEEviiPT_lS3_lS3_S3_PiS2_S2_S2_: ; @_ZN9rocsolver6v33100L30stedc_mergeValues_Solve_kernelIfEEviiPT_lS3_lS3_S3_PiS2_S2_S2_
; %bb.0:
	s_load_dword s1, s[4:5], 0x5c
	s_load_dword s0, s[4:5], 0x4
	s_waitcnt lgkmcnt(0)
	s_and_b32 s1, s1, 0xffff
	s_mul_i32 s6, s6, s1
	v_add_u32_e32 v16, s6, v0
	v_cmp_gt_i32_e32 vcc, s0, v16
	s_and_saveexec_b64 s[2:3], vcc
	s_cbranch_execz .LBB21_205
; %bb.1:
	s_load_dwordx2 s[8:9], s[4:5], 0x38
	s_mul_i32 s2, s7, s0
	s_mul_i32 s6, s2, 13
	s_ashr_i32 s7, s6, 31
	s_ashr_i32 s1, s0, 31
	s_lshl_b64 s[6:7], s[6:7], 2
	s_waitcnt lgkmcnt(0)
	s_add_u32 s3, s8, s6
	s_mul_i32 s6, s0, 6
	s_addc_u32 s8, s9, s7
	s_ashr_i32 s7, s6, 31
	s_lshl_b64 s[6:7], s[6:7], 2
	s_add_u32 s3, s3, s6
	v_ashrrev_i32_e32 v17, 31, v16
	s_addc_u32 s8, s8, s7
	s_lshl_b64 s[6:7], s[0:1], 2
	v_lshlrev_b64 v[0:1], 2, v[16:17]
	s_add_u32 s6, s3, s6
	v_mov_b32_e32 v3, s8
	v_add_co_u32_e32 v2, vcc, s3, v0
	s_addc_u32 s7, s8, s7
	v_addc_co_u32_e32 v3, vcc, v3, v1, vcc
	v_mov_b32_e32 v5, s7
	v_add_co_u32_e32 v4, vcc, s6, v0
	v_addc_co_u32_e32 v5, vcc, v5, v1, vcc
	global_load_dword v18, v[2:3], off
	global_load_dword v24, v[4:5], off
	s_waitcnt vmcnt(1)
	v_sub_u32_e32 v22, v16, v18
	s_waitcnt vmcnt(0)
	v_cmp_lt_i32_e32 vcc, v22, v24
	s_and_b64 exec, exec, vcc
	s_cbranch_execz .LBB21_205
; %bb.2:
	s_load_dwordx4 s[12:15], s[4:5], 0x28
	s_load_dword s39, s[4:5], 0x40
	s_mul_i32 s6, s2, 10
	s_ashr_i32 s7, s6, 31
	s_lshl_b64 s[22:23], s[6:7], 2
	s_waitcnt lgkmcnt(0)
	s_add_u32 s3, s12, s22
	s_addc_u32 s6, s13, s23
	s_lshl_b32 s4, s0, 3
	s_ashr_i32 s5, s4, 31
	s_lshl_b64 s[24:25], s[4:5], 2
	s_add_u32 s7, s3, s24
	s_addc_u32 s6, s6, s25
	s_mul_i32 s4, s0, 0xffffffe4
	s_mul_hi_i32 s3, s0, 0xffffffe4
	s_add_u32 s33, s7, s4
	s_addc_u32 s38, s6, s3
	s_lshl_b64 s[4:5], s[0:1], 5
	s_add_u32 s1, s33, s4
	s_mul_i32 s2, s2, s0
	s_addc_u32 s3, s38, s5
	s_lshl_b32 s2, s2, 1
	v_mov_b32_e32 v3, s3
	s_ashr_i32 s3, s2, 31
	v_add_co_u32_e32 v2, vcc, s1, v0
	s_lshl_b64 s[18:19], s[2:3], 2
	v_addc_co_u32_e32 v3, vcc, v3, v1, vcc
	s_add_u32 s1, s14, s18
	s_mul_i32 s2, s0, s0
	s_mov_b32 s3, 0
	global_load_dword v36, v[2:3], off
	s_addc_u32 s4, s15, s19
	s_lshl_b64 s[16:17], s[2:3], 2
	v_mul_lo_u32 v2, v16, s0
	s_add_u32 s1, s1, s16
	v_ashrrev_i32_e32 v3, 31, v2
	s_addc_u32 s2, s4, s17
	v_lshlrev_b64 v[20:21], 2, v[2:3]
	v_mov_b32_e32 v3, s2
	v_add_co_u32_e32 v2, vcc, s1, v20
	v_ashrrev_i32_e32 v23, 31, v22
	v_addc_co_u32_e32 v3, vcc, v3, v21, vcc
	v_lshlrev_b64 v[14:15], 2, v[22:23]
	v_add_co_u32_e32 v4, vcc, v2, v14
	v_addc_co_u32_e32 v5, vcc, v3, v15, vcc
	global_load_dword v10, v[4:5], off
	v_ashrrev_i32_e32 v19, 31, v18
	v_lshlrev_b64 v[26:27], 2, v[18:19]
	v_add_u32_e32 v8, -1, v24
	v_mov_b32_e32 v7, s6
	v_add_co_u32_e64 v6, s[0:1], s7, v26
	v_cmp_ne_u32_e32 vcc, v22, v8
	v_addc_co_u32_e64 v7, s[0:1], v7, v27, s[0:1]
                                        ; implicit-def: $vgpr35
	s_and_saveexec_b64 s[0:1], vcc
	s_xor_b64 s[20:21], exec, s[0:1]
	s_cbranch_execz .LBB21_128
; %bb.3:
	global_load_dword v32, v[4:5], off offset:4
	v_cmp_lt_i32_e32 vcc, 0, v22
	v_mov_b32_e32 v11, 0
	s_waitcnt vmcnt(0)
	v_add_f32_e32 v9, v10, v32
	v_mul_f32_e32 v23, 0.5, v9
	s_and_saveexec_b64 s[0:1], vcc
	s_cbranch_execz .LBB21_7
; %bb.4:
	s_mov_b64 s[2:3], 0
	v_mov_b32_e32 v11, 0
	v_pk_mov_b32 v[12:13], v[6:7], v[6:7] op_sel:[0,1]
	v_pk_mov_b32 v[16:17], v[2:3], v[2:3] op_sel:[0,1]
	v_mov_b32_e32 v9, v22
.LBB21_5:                               ; =>This Inner Loop Header: Depth=1
	global_load_dword v18, v[16:17], off
	global_load_dword v19, v[12:13], off
	v_add_co_u32_e32 v16, vcc, 4, v16
	v_addc_co_u32_e32 v17, vcc, 0, v17, vcc
	v_add_co_u32_e32 v12, vcc, 4, v12
	v_add_u32_e32 v9, -1, v9
	v_addc_co_u32_e32 v13, vcc, 0, v13, vcc
	v_cmp_eq_u32_e32 vcc, 0, v9
	s_or_b64 s[2:3], vcc, s[2:3]
	s_waitcnt vmcnt(1)
	v_sub_f32_e32 v18, v18, v23
	s_waitcnt vmcnt(0)
	v_div_scale_f32 v25, s[4:5], v18, v18, v19
	v_rcp_f32_e32 v28, v25
	v_div_scale_f32 v29, vcc, v19, v18, v19
	v_fma_f32 v30, -v25, v28, 1.0
	v_fmac_f32_e32 v28, v30, v28
	v_mul_f32_e32 v30, v29, v28
	v_fma_f32 v31, -v25, v30, v29
	v_fmac_f32_e32 v30, v31, v28
	v_fma_f32 v25, -v25, v30, v29
	v_div_fmas_f32 v25, v25, v28, v30
	v_div_fixup_f32 v18, v25, v18, v19
	v_fmac_f32_e32 v11, v19, v18
	s_andn2_b64 exec, exec, s[2:3]
	s_cbranch_execnz .LBB21_5
; %bb.6:
	s_or_b64 exec, exec, s[2:3]
.LBB21_7:
	s_or_b64 exec, exec, s[0:1]
	v_add_u32_e32 v12, 1, v22
	v_cmp_gt_i32_e32 vcc, v8, v12
	v_mov_b32_e32 v13, 0
	v_ashrrev_i32_e32 v9, 31, v8
	s_and_saveexec_b64 s[0:1], vcc
	s_cbranch_execz .LBB21_11
; %bb.8:
	v_mov_b32_e32 v13, s19
	v_add_co_u32_e32 v16, vcc, s18, v20
	v_addc_co_u32_e32 v13, vcc, v13, v21, vcc
	v_lshlrev_b64 v[18:19], 2, v[8:9]
	v_add_co_u32_e32 v16, vcc, v16, v18
	s_add_u32 s2, s14, s16
	v_addc_co_u32_e32 v13, vcc, v13, v19, vcc
	s_addc_u32 s3, s15, s17
	v_mov_b32_e32 v17, s3
	v_add_co_u32_e32 v16, vcc, s2, v16
	s_add_u32 s2, s24, s22
	v_addc_co_u32_e32 v17, vcc, v17, v13, vcc
	s_addc_u32 s3, s25, s23
	v_mov_b32_e32 v13, s3
	v_add_co_u32_e32 v25, vcc, s2, v26
	v_addc_co_u32_e32 v13, vcc, v13, v27, vcc
	v_add_co_u32_e32 v18, vcc, v25, v18
	v_addc_co_u32_e32 v13, vcc, v13, v19, vcc
	v_mov_b32_e32 v19, s13
	v_add_co_u32_e32 v18, vcc, s12, v18
	v_addc_co_u32_e32 v19, vcc, v19, v13, vcc
	s_mov_b64 s[2:3], 0
	v_mov_b32_e32 v13, 0
	v_mov_b32_e32 v25, v8
.LBB21_9:                               ; =>This Inner Loop Header: Depth=1
	global_load_dword v28, v[16:17], off
	global_load_dword v29, v[18:19], off
	v_add_co_u32_e32 v16, vcc, -4, v16
	v_addc_co_u32_e32 v17, vcc, -1, v17, vcc
	v_add_co_u32_e32 v18, vcc, -4, v18
	v_add_u32_e32 v25, -1, v25
	v_addc_co_u32_e32 v19, vcc, -1, v19, vcc
	v_cmp_le_i32_e32 vcc, v25, v12
	s_or_b64 s[2:3], vcc, s[2:3]
	s_waitcnt vmcnt(1)
	v_sub_f32_e32 v28, v28, v23
	s_waitcnt vmcnt(0)
	v_div_scale_f32 v30, s[4:5], v28, v28, v29
	v_rcp_f32_e32 v31, v30
	v_div_scale_f32 v33, vcc, v29, v28, v29
	v_fma_f32 v34, -v30, v31, 1.0
	v_fmac_f32_e32 v31, v34, v31
	v_mul_f32_e32 v34, v33, v31
	v_fma_f32 v35, -v30, v34, v33
	v_fmac_f32_e32 v34, v35, v31
	v_fma_f32 v30, -v30, v34, v33
	v_div_fmas_f32 v30, v30, v31, v34
	v_div_fixup_f32 v28, v30, v28, v29
	v_fmac_f32_e32 v13, v29, v28
	s_andn2_b64 exec, exec, s[2:3]
	s_cbranch_execnz .LBB21_9
; %bb.10:
	s_or_b64 exec, exec, s[2:3]
.LBB21_11:
	s_or_b64 exec, exec, s[0:1]
	v_add_co_u32_e32 v14, vcc, v6, v14
	v_addc_co_u32_e32 v15, vcc, v7, v15, vcc
	global_load_dwordx2 v[18:19], v[14:15], off
	v_and_b32_e32 v17, 0x7fffffff, v36
	v_div_scale_f32 v23, s[0:1], v17, v17, 1.0
	v_rcp_f32_e32 v25, v23
	v_div_scale_f32 v17, vcc, 1.0, v17, 1.0
	v_sub_f32_e32 v16, v32, v10
	v_fma_f32 v28, -v23, v25, 1.0
	v_fmac_f32_e32 v25, v28, v25
	v_mul_f32_e32 v28, v17, v25
	v_fma_f32 v29, -v23, v28, v17
	v_fmac_f32_e32 v28, v29, v25
	v_fma_f32 v17, -v23, v28, v17
	v_div_fmas_f32 v17, v17, v25, v28
	v_div_fixup_f32 v17, v17, |v36|, 1.0
	v_add_f32_e32 v11, v17, v11
                                        ; implicit-def: $vgpr35
                                        ; implicit-def: $sgpr4
                                        ; implicit-def: $vgpr33
	s_waitcnt vmcnt(0)
	v_pk_mul_f32 v[28:29], v[18:19], v[18:19]
	v_sub_f32_e32 v18, v29, v28
	v_add_f32_e32 v18, v18, v18
	v_div_scale_f32 v23, s[0:1], v16, v16, v18
	v_rcp_f32_e32 v25, v23
	v_add_f32_e32 v19, v11, v13
	v_div_scale_f32 v11, vcc, v18, v16, v18
	v_fma_f32 v13, -v23, v25, 1.0
	v_fmac_f32_e32 v25, v13, v25
	v_mul_f32_e32 v13, v11, v25
	v_fma_f32 v30, -v23, v13, v11
	v_fmac_f32_e32 v13, v30, v25
	v_fma_f32 v11, -v23, v13, v11
	v_div_fmas_f32 v11, v11, v25, v13
	v_div_fixup_f32 v11, v11, v16, v18
	v_add_f32_e32 v11, v19, v11
	v_cmp_lt_f32_e64 s[0:1], 0, v11
	v_cmp_nlt_f32_e64 s[2:3], 0, v11
	v_mul_f32_e32 v13, v16, v19
                                        ; implicit-def: $vgpr11
	s_and_saveexec_b64 s[6:7], s[2:3]
	s_xor_b64 s[6:7], exec, s[6:7]
	s_cbranch_execz .LBB21_17
; %bb.12:
	v_sub_f32_e32 v11, v13, v28
	v_mul_f32_e32 v18, v16, v29
	v_sub_f32_e32 v13, v11, v29
	v_mul_f32_e32 v11, 4.0, v18
	v_mul_f32_e32 v11, v19, v11
	v_fmac_f32_e32 v11, v13, v13
	s_mov_b32 s4, 0xf800000
	s_mov_b32 s5, 0x4f800000
	v_mul_f32_e64 v22, |v11|, s5
	v_cmp_lt_f32_e64 vcc, |v11|, s4
	v_cndmask_b32_e64 v11, |v11|, v22, vcc
	v_sqrt_f32_e32 v22, v11
	v_add_u32_e32 v23, -1, v22
	v_fma_f32 v25, -v23, v22, v11
	v_cmp_ge_f32_e64 s[4:5], 0, v25
	v_add_u32_e32 v25, 1, v22
	v_cndmask_b32_e64 v23, v22, v23, s[4:5]
	v_fma_f32 v22, -v25, v22, v11
	v_cmp_lt_f32_e64 s[4:5], 0, v22
	v_cndmask_b32_e64 v22, v23, v25, s[4:5]
	v_mul_f32_e32 v23, 0x37800000, v22
	v_cndmask_b32_e32 v22, v22, v23, vcc
	v_mov_b32_e32 v23, 0x260
	v_cmp_class_f32_e32 vcc, v11, v23
	v_cndmask_b32_e32 v22, v22, v11, vcc
	v_cmp_ngt_f32_e32 vcc, 0, v13
                                        ; implicit-def: $vgpr11
	s_and_saveexec_b64 s[4:5], vcc
	s_xor_b64 s[4:5], exec, s[4:5]
	s_cbranch_execz .LBB21_14
; %bb.13:
	v_add_f32_e32 v11, v13, v22
	v_add_f32_e32 v13, v19, v19
	v_div_scale_f32 v18, s[8:9], v13, v13, -v11
	v_rcp_f32_e32 v19, v18
	v_fma_f32 v22, -v18, v19, 1.0
	v_fmac_f32_e32 v19, v22, v19
	v_div_scale_f32 v22, vcc, -v11, v13, -v11
	v_mul_f32_e32 v23, v22, v19
	v_fma_f32 v25, -v18, v23, v22
	v_fmac_f32_e32 v23, v25, v19
	v_fma_f32 v18, -v18, v23, v22
	v_div_fmas_f32 v18, v18, v19, v23
	v_div_fixup_f32 v11, v18, v13, -v11
                                        ; implicit-def: $vgpr18
                                        ; implicit-def: $vgpr13
                                        ; implicit-def: $vgpr22
.LBB21_14:
	s_andn2_saveexec_b64 s[4:5], s[4:5]
	s_cbranch_execz .LBB21_16
; %bb.15:
	v_add_f32_e32 v11, v18, v18
	v_sub_f32_e32 v13, v13, v22
	v_div_scale_f32 v18, s[8:9], v13, v13, v11
	v_rcp_f32_e32 v19, v18
	v_fma_f32 v22, -v18, v19, 1.0
	v_fmac_f32_e32 v19, v22, v19
	v_div_scale_f32 v22, vcc, v11, v13, v11
	v_mul_f32_e32 v23, v22, v19
	v_fma_f32 v25, -v18, v23, v22
	v_fmac_f32_e32 v23, v25, v19
	v_fma_f32 v18, -v18, v23, v22
	v_div_fmas_f32 v18, v18, v19, v23
	v_div_fixup_f32 v11, v18, v13, v11
.LBB21_16:
	s_or_b64 exec, exec, s[4:5]
	v_mul_f32_e32 v33, -0.5, v16
	v_add_f32_e32 v35, v32, v11
	s_mov_b32 s4, 0
                                        ; implicit-def: $vgpr13
                                        ; implicit-def: $vgpr28_vgpr29
                                        ; implicit-def: $vgpr19
                                        ; implicit-def: $vgpr22
.LBB21_17:
	s_or_saveexec_b64 s[6:7], s[6:7]
	v_mov_b32_e32 v34, s4
	v_mov_b32_e32 v18, v32
	s_xor_b64 exec, exec, s[6:7]
	s_cbranch_execz .LBB21_23
; %bb.18:
	v_add_f32_e32 v11, v13, v28
	v_pk_mul_f32 v[12:13], v[16:17], v[28:29]
	v_add_f32_e32 v13, v11, v29
	v_mul_f32_e32 v11, v13, v13
	v_mul_f32_e32 v18, -4.0, v12
	v_fmac_f32_e32 v11, v19, v18
	s_mov_b32 s4, 0xf800000
	s_mov_b32 s5, 0x4f800000
	v_mul_f32_e64 v18, |v11|, s5
	v_cmp_lt_f32_e64 vcc, |v11|, s4
	v_cndmask_b32_e64 v11, |v11|, v18, vcc
	v_sqrt_f32_e32 v18, v11
	v_add_u32_e32 v23, -1, v18
	v_fma_f32 v25, -v23, v18, v11
	v_cmp_ge_f32_e64 s[4:5], 0, v25
	v_add_u32_e32 v25, 1, v18
	v_cndmask_b32_e64 v23, v18, v23, s[4:5]
	v_fma_f32 v18, -v25, v18, v11
	v_cmp_lt_f32_e64 s[4:5], 0, v18
	v_cndmask_b32_e64 v18, v23, v25, s[4:5]
	v_mul_f32_e32 v23, 0x37800000, v18
	v_cndmask_b32_e32 v18, v18, v23, vcc
	v_mov_b32_e32 v23, 0x260
	v_cmp_class_f32_e32 vcc, v11, v23
	v_cndmask_b32_e32 v18, v18, v11, vcc
	v_cmp_nlt_f32_e32 vcc, 0, v13
                                        ; implicit-def: $vgpr11
	s_and_saveexec_b64 s[4:5], vcc
	s_xor_b64 s[4:5], exec, s[4:5]
	s_cbranch_execz .LBB21_20
; %bb.19:
	v_sub_f32_e32 v11, v13, v18
	v_add_f32_e32 v12, v19, v19
	v_div_scale_f32 v13, s[8:9], v12, v12, v11
	v_rcp_f32_e32 v18, v13
	v_fma_f32 v19, -v13, v18, 1.0
	v_fmac_f32_e32 v18, v19, v18
	v_div_scale_f32 v19, vcc, v11, v12, v11
	v_mul_f32_e32 v23, v19, v18
	v_fma_f32 v25, -v13, v23, v19
	v_fmac_f32_e32 v23, v25, v18
	v_fma_f32 v13, -v13, v23, v19
	v_div_fmas_f32 v13, v13, v18, v23
	v_div_fixup_f32 v11, v13, v12, v11
                                        ; implicit-def: $vgpr12_vgpr13
                                        ; implicit-def: $vgpr13
                                        ; implicit-def: $vgpr18
.LBB21_20:
	s_andn2_saveexec_b64 s[4:5], s[4:5]
	s_cbranch_execz .LBB21_22
; %bb.21:
	v_add_f32_e32 v11, v12, v12
	v_add_f32_e32 v12, v13, v18
	v_div_scale_f32 v13, s[8:9], v12, v12, v11
	v_rcp_f32_e32 v18, v13
	v_fma_f32 v19, -v13, v18, 1.0
	v_fmac_f32_e32 v18, v19, v18
	v_div_scale_f32 v19, vcc, v11, v12, v11
	v_mul_f32_e32 v23, v19, v18
	v_fma_f32 v25, -v13, v23, v19
	v_fmac_f32_e32 v23, v25, v18
	v_fma_f32 v13, -v13, v23, v19
	v_div_fmas_f32 v13, v13, v18, v23
	v_div_fixup_f32 v11, v13, v12, v11
.LBB21_22:
	s_or_b64 exec, exec, s[4:5]
	v_mul_f32_e32 v34, 0.5, v16
	v_add_f32_e32 v35, v10, v11
	v_mov_b32_e32 v33, 0
	v_mov_b32_e32 v12, v22
	v_mov_b32_e32 v18, v10
.LBB21_23:
	s_or_b64 exec, exec, s[6:7]
	v_cmp_lt_i32_e32 vcc, -1, v12
	s_and_saveexec_b64 s[4:5], vcc
	s_cbranch_execz .LBB21_31
; %bb.24:
	v_add_u32_e32 v13, 1, v12
	v_cmp_ne_u32_e32 vcc, 0, v12
	s_mov_b64 s[8:9], -1
	v_mov_b32_e32 v22, 0
	s_and_saveexec_b64 s[6:7], vcc
	s_cbranch_execz .LBB21_28
; %bb.25:
	v_and_b32_e32 v22, -2, v13
	v_mov_b32_e32 v19, v18
	s_mov_b64 s[8:9], 0
	v_mov_b32_e32 v23, v22
	v_pk_mov_b32 v[28:29], v[2:3], v[2:3] op_sel:[0,1]
.LBB21_26:                              ; =>This Inner Loop Header: Depth=1
	global_load_dwordx2 v[30:31], v[28:29], off
	v_add_u32_e32 v23, -2, v23
	v_cmp_eq_u32_e32 vcc, 0, v23
	s_or_b64 s[8:9], vcc, s[8:9]
	s_waitcnt vmcnt(0)
	v_pk_add_f32 v[30:31], v[30:31], v[18:19] neg_lo:[0,1] neg_hi:[0,1]
	global_store_dwordx2 v[28:29], v[30:31], off
	v_add_co_u32_e32 v28, vcc, 8, v28
	v_addc_co_u32_e32 v29, vcc, 0, v29, vcc
	s_andn2_b64 exec, exec, s[8:9]
	s_cbranch_execnz .LBB21_26
; %bb.27:
	s_or_b64 exec, exec, s[8:9]
	v_cmp_ne_u32_e32 vcc, v13, v22
	s_orn2_b64 s[8:9], vcc, exec
.LBB21_28:
	s_or_b64 exec, exec, s[6:7]
	s_and_b64 exec, exec, s[8:9]
	s_cbranch_execz .LBB21_31
; %bb.29:
	v_mov_b32_e32 v19, s19
	v_add_co_u32_e32 v25, vcc, s18, v20
	v_mov_b32_e32 v23, 0
	v_sub_u32_e32 v13, v13, v22
	v_addc_co_u32_e32 v19, vcc, v19, v21, vcc
	v_lshlrev_b64 v[22:23], 2, v[22:23]
	v_add_co_u32_e32 v22, vcc, v25, v22
	s_add_u32 s6, s14, s16
	v_addc_co_u32_e32 v19, vcc, v19, v23, vcc
	s_addc_u32 s7, s15, s17
	v_mov_b32_e32 v23, s7
	v_add_co_u32_e32 v22, vcc, s6, v22
	v_addc_co_u32_e32 v23, vcc, v23, v19, vcc
	s_mov_b64 s[6:7], 0
.LBB21_30:                              ; =>This Inner Loop Header: Depth=1
	global_load_dword v19, v[22:23], off
	v_add_u32_e32 v13, -1, v13
	v_cmp_eq_u32_e32 vcc, 0, v13
	s_or_b64 s[6:7], vcc, s[6:7]
	s_waitcnt vmcnt(0)
	v_sub_f32_e32 v19, v19, v18
	global_store_dword v[22:23], v19, off
	v_add_co_u32_e32 v22, vcc, 4, v22
	v_addc_co_u32_e32 v23, vcc, 0, v23, vcc
	s_andn2_b64 exec, exec, s[6:7]
	s_cbranch_execnz .LBB21_30
.LBB21_31:
	s_or_b64 exec, exec, s[4:5]
	v_cmp_le_i32_e64 s[8:9], v8, v12
	v_cmp_gt_i32_e64 s[4:5], v8, v12
	s_and_saveexec_b64 s[6:7], s[4:5]
	s_cbranch_execz .LBB21_39
; %bb.32:
	v_xad_u32 v13, v12, -1, v24
	v_cmp_lt_u32_e32 vcc, 1, v13
	s_mov_b64 s[26:27], -1
	v_mov_b32_e32 v22, v8
	s_and_saveexec_b64 s[10:11], vcc
	s_cbranch_execz .LBB21_36
; %bb.33:
	v_and_b32_e32 v24, -2, v13
	v_add_co_u32_e32 v25, vcc, -4, v2
	v_mov_b32_e32 v19, v18
	v_addc_co_u32_e32 v28, vcc, -1, v3, vcc
	s_mov_b64 s[26:27], 0
	v_mov_b32_e32 v22, v8
	v_mov_b32_e32 v29, v24
.LBB21_34:                              ; =>This Inner Loop Header: Depth=1
	v_ashrrev_i32_e32 v23, 31, v22
	v_lshlrev_b64 v[30:31], 2, v[22:23]
	v_add_co_u32_e32 v30, vcc, v25, v30
	v_addc_co_u32_e32 v31, vcc, v28, v31, vcc
	global_load_dwordx2 v[38:39], v[30:31], off
	v_add_u32_e32 v29, -2, v29
	v_cmp_eq_u32_e32 vcc, 0, v29
	s_or_b64 s[26:27], vcc, s[26:27]
	v_add_u32_e32 v22, -2, v22
	s_waitcnt vmcnt(0)
	v_pk_add_f32 v[38:39], v[38:39], v[18:19] neg_lo:[0,1] neg_hi:[0,1]
	global_store_dwordx2 v[30:31], v[38:39], off
	s_andn2_b64 exec, exec, s[26:27]
	s_cbranch_execnz .LBB21_34
; %bb.35:
	s_or_b64 exec, exec, s[26:27]
	v_cmp_ne_u32_e32 vcc, v13, v24
	v_sub_u32_e32 v22, v8, v24
	s_orn2_b64 s[26:27], vcc, exec
.LBB21_36:
	s_or_b64 exec, exec, s[10:11]
	s_and_b64 exec, exec, s[26:27]
	s_cbranch_execz .LBB21_39
; %bb.37:
	v_ashrrev_i32_e32 v23, 31, v22
	v_lshlrev_b64 v[24:25], 2, v[22:23]
	v_mov_b32_e32 v13, s19
	v_add_co_u32_e32 v19, vcc, s18, v24
	v_addc_co_u32_e32 v13, vcc, v25, v13, vcc
	v_add_co_u32_e32 v19, vcc, v19, v20
	s_add_u32 s10, s14, s16
	v_addc_co_u32_e32 v13, vcc, v13, v21, vcc
	s_addc_u32 s11, s15, s17
	v_mov_b32_e32 v23, s11
	v_add_co_u32_e32 v24, vcc, s10, v19
	v_addc_co_u32_e32 v25, vcc, v23, v13, vcc
	s_mov_b64 s[10:11], 0
.LBB21_38:                              ; =>This Inner Loop Header: Depth=1
	global_load_dword v13, v[24:25], off
	v_add_u32_e32 v22, -1, v22
	v_cmp_le_i32_e32 vcc, v22, v12
	s_or_b64 s[10:11], vcc, s[10:11]
	s_waitcnt vmcnt(0)
	v_sub_f32_e32 v13, v13, v18
	global_store_dword v[24:25], v13, off
	v_add_co_u32_e32 v24, vcc, -4, v24
	v_addc_co_u32_e32 v25, vcc, -1, v25, vcc
	s_andn2_b64 exec, exec, s[10:11]
	s_cbranch_execnz .LBB21_38
.LBB21_39:
	s_or_b64 exec, exec, s[6:7]
	v_ashrrev_i32_e32 v13, 31, v12
	v_lshlrev_b64 v[24:25], 2, v[12:13]
	v_add_co_u32_e32 v22, vcc, v2, v24
	v_addc_co_u32_e32 v23, vcc, v3, v25, vcc
	global_load_dword v13, v[22:23], off
	v_cmp_lt_i32_e64 s[6:7], 0, v12
	v_mov_b32_e32 v19, 0
	v_mov_b32_e32 v37, 0
	s_waitcnt vmcnt(0)
	v_sub_f32_e32 v13, v13, v11
	global_store_dword v[22:23], v13, off
	v_mov_b32_e32 v13, 0
	s_and_saveexec_b64 s[10:11], s[6:7]
	s_cbranch_execz .LBB21_43
; %bb.40:
	s_mov_b64 s[26:27], 0
	v_mov_b32_e32 v19, 0
	v_pk_mov_b32 v[28:29], v[6:7], v[6:7] op_sel:[0,1]
	v_pk_mov_b32 v[30:31], v[2:3], v[2:3] op_sel:[0,1]
	v_mov_b32_e32 v38, v12
	v_mov_b32_e32 v37, 0
	;; [unrolled: 1-line block ×3, first 2 shown]
.LBB21_41:                              ; =>This Inner Loop Header: Depth=1
	global_load_dword v39, v[30:31], off
	v_add_u32_e32 v38, -1, v38
	v_cmp_eq_u32_e32 vcc, 0, v38
	s_or_b64 s[26:27], vcc, s[26:27]
	s_waitcnt vmcnt(0)
	v_sub_f32_e32 v39, v39, v11
	global_store_dword v[30:31], v39, off
	global_load_dword v40, v[28:29], off
	v_add_co_u32_e32 v30, vcc, 4, v30
	v_addc_co_u32_e32 v31, vcc, 0, v31, vcc
	v_add_co_u32_e32 v28, vcc, 4, v28
	v_addc_co_u32_e32 v29, vcc, 0, v29, vcc
	s_waitcnt vmcnt(0)
	v_div_scale_f32 v41, s[28:29], v39, v39, v40
	v_rcp_f32_e32 v42, v41
	v_div_scale_f32 v43, vcc, v40, v39, v40
	v_fma_f32 v44, -v41, v42, 1.0
	v_fmac_f32_e32 v42, v44, v42
	v_mul_f32_e32 v44, v43, v42
	v_fma_f32 v45, -v41, v44, v43
	v_fmac_f32_e32 v44, v45, v42
	v_fma_f32 v41, -v41, v44, v43
	v_div_fmas_f32 v41, v41, v42, v44
	v_div_fixup_f32 v39, v41, v39, v40
	v_fmac_f32_e32 v13, v40, v39
	v_fmac_f32_e32 v19, v39, v39
	v_add_f32_e32 v37, v37, v13
	s_andn2_b64 exec, exec, s[26:27]
	s_cbranch_execnz .LBB21_41
; %bb.42:
	s_or_b64 exec, exec, s[26:27]
.LBB21_43:
	s_or_b64 exec, exec, s[10:11]
	v_and_b32_e32 v38, 0x7fffffff, v37
	v_mov_b32_e32 v37, 0
	v_mov_b32_e32 v39, 0
	s_and_saveexec_b64 s[10:11], s[4:5]
	s_cbranch_execz .LBB21_47
; %bb.44:
	v_mov_b32_e32 v28, s19
	v_add_co_u32_e32 v29, vcc, s18, v20
	v_addc_co_u32_e32 v28, vcc, v28, v21, vcc
	v_lshlrev_b64 v[30:31], 2, v[8:9]
	v_add_co_u32_e32 v29, vcc, v29, v30
	s_add_u32 s26, s14, s16
	v_addc_co_u32_e32 v37, vcc, v28, v31, vcc
	s_addc_u32 s27, s15, s17
	v_mov_b32_e32 v39, s27
	v_add_co_u32_e32 v28, vcc, s26, v29
	s_add_u32 s26, s24, s22
	v_addc_co_u32_e32 v29, vcc, v39, v37, vcc
	s_addc_u32 s27, s25, s23
	v_mov_b32_e32 v37, s27
	v_add_co_u32_e32 v39, vcc, s26, v26
	v_addc_co_u32_e32 v37, vcc, v37, v27, vcc
	v_add_co_u32_e32 v30, vcc, v39, v30
	v_addc_co_u32_e32 v31, vcc, v37, v31, vcc
	v_mov_b32_e32 v37, s13
	v_add_co_u32_e32 v30, vcc, s12, v30
	v_addc_co_u32_e32 v31, vcc, v37, v31, vcc
	s_mov_b64 s[26:27], 0
	v_mov_b32_e32 v37, 0
	v_mov_b32_e32 v40, v8
	;; [unrolled: 1-line block ×3, first 2 shown]
.LBB21_45:                              ; =>This Inner Loop Header: Depth=1
	global_load_dword v41, v[28:29], off
	v_add_u32_e32 v40, -1, v40
	v_cmp_le_i32_e32 vcc, v40, v12
	s_or_b64 s[26:27], vcc, s[26:27]
	s_waitcnt vmcnt(0)
	v_sub_f32_e32 v41, v41, v11
	global_store_dword v[28:29], v41, off
	global_load_dword v42, v[30:31], off
	v_add_co_u32_e32 v28, vcc, -4, v28
	v_addc_co_u32_e32 v29, vcc, -1, v29, vcc
	v_add_co_u32_e32 v30, vcc, -4, v30
	v_addc_co_u32_e32 v31, vcc, -1, v31, vcc
	s_waitcnt vmcnt(0)
	v_div_scale_f32 v43, s[28:29], v41, v41, v42
	v_rcp_f32_e32 v44, v43
	v_div_scale_f32 v45, vcc, v42, v41, v42
	v_fma_f32 v46, -v43, v44, 1.0
	v_fmac_f32_e32 v44, v46, v44
	v_mul_f32_e32 v46, v45, v44
	v_fma_f32 v47, -v43, v46, v45
	v_fmac_f32_e32 v46, v47, v44
	v_fma_f32 v43, -v43, v46, v45
	v_div_fmas_f32 v43, v43, v44, v46
	v_div_fixup_f32 v41, v43, v41, v42
	v_fmac_f32_e32 v39, v42, v41
	v_fmac_f32_e32 v37, v41, v41
	v_add_f32_e32 v38, v38, v39
	s_andn2_b64 exec, exec, s[26:27]
	s_cbranch_execnz .LBB21_45
; %bb.46:
	s_or_b64 exec, exec, s[26:27]
.LBB21_47:
	s_or_b64 exec, exec, s[10:11]
	v_add_co_u32_e32 v24, vcc, v6, v24
	v_addc_co_u32_e32 v25, vcc, v7, v25, vcc
	global_load_dword v30, v[22:23], off
	global_load_dword v28, v[24:25], off
	v_add_f32_e32 v29, v17, v13
	v_add_f32_e32 v37, v19, v37
	v_sub_f32_e32 v19, v39, v13
	v_add_f32_e32 v13, v17, v17
	v_add_f32_e32 v39, v29, v39
	v_mov_b32_e32 v29, v13
	v_fmac_f32_e32 v29, 0x41000000, v19
	s_waitcnt vmcnt(0)
	v_div_scale_f32 v31, s[10:11], v30, v30, v28
	v_rcp_f32_e32 v40, v31
	v_div_scale_f32 v19, vcc, v28, v30, v28
	s_mov_b32 s10, 0x40400000
	v_fma_f32 v41, -v31, v40, 1.0
	v_fmac_f32_e32 v40, v41, v40
	v_mul_f32_e32 v41, v19, v40
	v_fma_f32 v42, -v31, v41, v19
	v_fmac_f32_e32 v41, v42, v40
	v_fma_f32 v19, -v31, v41, v19
	v_div_fmas_f32 v19, v19, v40, v41
	v_div_fixup_f32 v19, v19, v30, v28
	v_mul_f32_e32 v40, v28, v19
	v_fma_f32 v31, v19, v19, v37
	v_fmac_f32_e32 v39, v28, v19
	v_fma_f32 v19, |v40|, s10, v29
	v_fma_f32 v19, |v11|, v31, v19
	v_add_f32_e32 v19, v38, v19
	v_mul_f32_e32 v19, s39, v19
	v_cmp_nle_f32_e64 s[10:11], |v39|, v19
	s_and_saveexec_b64 s[26:27], s[10:11]
	s_cbranch_execz .LBB21_127
; %bb.48:
	v_cndmask_b32_e64 v19, 4, 0, s[0:1]
	v_add_co_u32_e32 v40, vcc, v14, v19
	v_addc_co_u32_e32 v41, vcc, 0, v15, vcc
	global_load_dword v35, v[40:41], off
	global_load_dwordx2 v[28:29], v[4:5], off
	v_sub_f32_e32 v19, v10, v32
	v_cndmask_b32_e64 v10, v16, v19, s[0:1]
	s_waitcnt vmcnt(1)
	v_mul_f32_e32 v10, v10, v35
	s_waitcnt vmcnt(0)
	v_cndmask_b32_e64 v32, v29, v28, s[0:1]
	v_mul_f32_e32 v10, v35, v10
	v_div_scale_f32 v35, s[10:11], v32, v32, v10
	v_rcp_f32_e32 v42, v35
	v_div_scale_f32 v44, vcc, v10, v32, v10
	v_mul_f32_e32 v41, v28, v29
	v_fma_f32 v45, -v35, v42, 1.0
	v_fmac_f32_e32 v42, v45, v42
	v_mul_f32_e32 v45, v44, v42
	v_fma_f32 v46, -v35, v45, v44
	v_fmac_f32_e32 v45, v46, v42
	v_fma_f32 v35, -v35, v45, v44
	v_div_fmas_f32 v35, v35, v42, v45
	v_div_fixup_f32 v35, v35, v32, v10
	v_div_scale_f32 v42, s[10:11], v32, v32, v35
	v_rcp_f32_e32 v44, v42
	v_add_f32_e32 v40, v28, v29
	v_mul_f32_e32 v43, v31, v41
	v_fma_f32 v10, v39, v40, -v43
	v_fma_f32 v43, -v42, v44, 1.0
	v_div_scale_f32 v40, vcc, v35, v32, v35
	v_fmac_f32_e32 v44, v43, v44
	v_mul_f32_e32 v43, v40, v44
	v_fma_f32 v45, -v42, v43, v40
	v_fmac_f32_e32 v43, v45, v44
	v_fma_f32 v40, -v42, v43, v40
	v_cndmask_b32_e64 v38, v28, v29, s[0:1]
	v_div_fmas_f32 v40, v40, v44, v43
	v_fma_f32 v38, -v31, v38, v39
	v_div_fixup_f32 v32, v40, v32, v35
	v_sub_f32_e32 v38, v38, v32
	v_mul_f32_e32 v35, v39, v41
	v_cmp_neq_f32_e32 vcc, 0, v38
                                        ; implicit-def: $vgpr32
	s_and_saveexec_b64 s[10:11], vcc
	s_xor_b64 s[28:29], exec, s[10:11]
	s_cbranch_execz .LBB21_54
; %bb.49:
	v_mul_f32_e32 v28, -4.0, v35
	v_mul_f32_e32 v28, v28, v38
	v_fmac_f32_e32 v28, v10, v10
	s_mov_b32 s10, 0xf800000
	s_mov_b32 s11, 0x4f800000
	v_mul_f32_e64 v29, |v28|, s11
	v_cmp_lt_f32_e64 vcc, |v28|, s10
	v_cndmask_b32_e64 v28, |v28|, v29, vcc
	v_sqrt_f32_e32 v29, v28
	v_add_u32_e32 v32, -1, v29
	v_fma_f32 v37, -v32, v29, v28
	v_cmp_ge_f32_e64 s[10:11], 0, v37
	v_add_u32_e32 v37, 1, v29
	v_cndmask_b32_e64 v32, v29, v32, s[10:11]
	v_fma_f32 v29, -v37, v29, v28
	v_cmp_lt_f32_e64 s[10:11], 0, v29
	v_cndmask_b32_e64 v29, v32, v37, s[10:11]
	v_mul_f32_e32 v32, 0x37800000, v29
	v_cndmask_b32_e32 v29, v29, v32, vcc
	v_mov_b32_e32 v32, 0x260
	v_cmp_class_f32_e32 vcc, v28, v32
	v_cndmask_b32_e32 v28, v29, v28, vcc
	v_cmp_ge_f32_e32 vcc, 0, v10
                                        ; implicit-def: $vgpr32
	s_and_saveexec_b64 s[10:11], vcc
	s_xor_b64 s[10:11], exec, s[10:11]
	s_cbranch_execz .LBB21_51
; %bb.50:
	v_sub_f32_e32 v10, v10, v28
	v_add_f32_e32 v28, v38, v38
	v_div_scale_f32 v29, s[30:31], v28, v28, v10
	v_rcp_f32_e32 v32, v29
	v_fma_f32 v35, -v29, v32, 1.0
	v_fmac_f32_e32 v32, v35, v32
	v_div_scale_f32 v35, vcc, v10, v28, v10
	v_mul_f32_e32 v37, v35, v32
	v_fma_f32 v38, -v29, v37, v35
	v_fmac_f32_e32 v37, v38, v32
	v_fma_f32 v29, -v29, v37, v35
	v_div_fmas_f32 v29, v29, v32, v37
	v_div_fixup_f32 v32, v29, v28, v10
                                        ; implicit-def: $vgpr35
                                        ; implicit-def: $vgpr10
                                        ; implicit-def: $vgpr28
.LBB21_51:
	s_andn2_saveexec_b64 s[10:11], s[10:11]
	s_cbranch_execz .LBB21_53
; %bb.52:
	v_add_f32_e32 v29, v35, v35
	v_add_f32_e32 v10, v10, v28
	v_div_scale_f32 v28, s[30:31], v10, v10, v29
	v_rcp_f32_e32 v32, v28
	v_fma_f32 v35, -v28, v32, 1.0
	v_fmac_f32_e32 v32, v35, v32
	v_div_scale_f32 v35, vcc, v29, v10, v29
	v_mul_f32_e32 v37, v35, v32
	v_fma_f32 v38, -v28, v37, v35
	v_fmac_f32_e32 v37, v38, v32
	v_fma_f32 v28, -v28, v37, v35
	v_div_fmas_f32 v28, v28, v32, v37
	v_div_fixup_f32 v32, v28, v10, v29
.LBB21_53:
	s_or_b64 exec, exec, s[10:11]
                                        ; implicit-def: $vgpr10
                                        ; implicit-def: $vgpr35
                                        ; implicit-def: $vgpr28_vgpr29
                                        ; implicit-def: $vgpr37
.LBB21_54:
	s_andn2_saveexec_b64 s[10:11], s[28:29]
	s_cbranch_execz .LBB21_62
; %bb.55:
	v_cmp_eq_f32_e32 vcc, 0, v10
	s_and_saveexec_b64 s[28:29], vcc
	s_cbranch_execz .LBB21_61
; %bb.56:
                                        ; implicit-def: $vgpr10
	s_and_saveexec_b64 s[30:31], s[2:3]
	s_xor_b64 s[30:31], exec, s[30:31]
	s_cbranch_execz .LBB21_58
; %bb.57:
	global_load_dword v10, v[14:15], off offset:4
	v_mul_f32_e32 v28, v28, v28
	s_waitcnt vmcnt(0)
	v_mul_f32_e32 v10, v10, v10
	v_fmac_f32_e32 v10, v37, v28
                                        ; implicit-def: $vgpr28_vgpr29
                                        ; implicit-def: $vgpr37
.LBB21_58:
	s_andn2_saveexec_b64 s[30:31], s[30:31]
	s_cbranch_execz .LBB21_60
; %bb.59:
	global_load_dword v10, v[14:15], off
	v_mul_f32_e32 v28, v29, v29
	s_waitcnt vmcnt(0)
	v_mul_f32_e32 v10, v10, v10
	v_fmac_f32_e32 v10, v37, v28
.LBB21_60:
	s_or_b64 exec, exec, s[30:31]
.LBB21_61:
	s_or_b64 exec, exec, s[28:29]
	v_div_scale_f32 v28, s[28:29], v10, v10, v35
	v_rcp_f32_e32 v29, v28
	v_div_scale_f32 v32, vcc, v35, v10, v35
	v_fma_f32 v37, -v28, v29, 1.0
	v_fmac_f32_e32 v29, v37, v29
	v_mul_f32_e32 v37, v32, v29
	v_fma_f32 v38, -v28, v37, v32
	v_fmac_f32_e32 v37, v38, v29
	v_fma_f32 v28, -v28, v37, v32
	v_div_fmas_f32 v28, v28, v29, v37
	v_div_fixup_f32 v32, v28, v10, v35
.LBB21_62:
	s_or_b64 exec, exec, s[10:11]
	v_mul_f32_e32 v10, v39, v32
	v_cmp_le_f32_e32 vcc, 0, v10
	s_and_saveexec_b64 s[10:11], vcc
; %bb.63:
	v_div_scale_f32 v10, s[28:29], v31, v31, -v39
	v_rcp_f32_e32 v28, v10
	v_div_scale_f32 v29, vcc, -v39, v31, -v39
	v_fma_f32 v32, -v10, v28, 1.0
	v_fmac_f32_e32 v28, v32, v28
	v_mul_f32_e32 v32, v29, v28
	v_fma_f32 v35, -v10, v32, v29
	v_fmac_f32_e32 v32, v35, v28
	v_fma_f32 v10, -v10, v32, v29
	v_div_fmas_f32 v10, v10, v28, v32
	v_div_fixup_f32 v32, v10, v31, -v39
; %bb.64:
	s_or_b64 exec, exec, s[10:11]
	v_cmp_lt_f32_e32 vcc, v33, v11
	v_cndmask_b32_e32 v10, v33, v11, vcc
	v_cmp_nge_f32_e32 vcc, 0, v39
	v_cndmask_b32_e32 v37, v10, v33, vcc
	v_cmp_lt_f32_e32 vcc, 0, v39
	v_cmp_lt_f32_e64 s[10:11], v11, v34
	s_and_b64 vcc, vcc, s[10:11]
	v_cndmask_b32_e32 v38, v34, v11, vcc
	v_add_f32_e32 v10, v11, v32
	v_cmp_gt_f32_e32 vcc, v10, v38
	v_cmp_lt_f32_e64 s[10:11], v10, v37
	s_or_b64 s[28:29], vcc, s[10:11]
	s_and_saveexec_b64 s[10:11], s[28:29]
	s_cbranch_execz .LBB21_70
; %bb.65:
	v_cmp_ngt_f32_e32 vcc, 0, v39
                                        ; implicit-def: $vgpr32
	s_and_saveexec_b64 s[28:29], vcc
	s_xor_b64 s[28:29], exec, s[28:29]
; %bb.66:
	v_sub_f32_e32 v10, v37, v11
	v_mul_f32_e32 v32, 0.5, v10
; %bb.67:
	s_andn2_saveexec_b64 s[28:29], s[28:29]
; %bb.68:
	v_sub_f32_e32 v10, v38, v11
	v_mul_f32_e32 v32, 0.5, v10
; %bb.69:
	s_or_b64 exec, exec, s[28:29]
.LBB21_70:
	s_or_b64 exec, exec, s[10:11]
	v_sub_f32_e32 v10, v30, v32
	global_store_dword v[22:23], v10, off
	v_mov_b32_e32 v10, 0
	v_mov_b32_e32 v33, 0
	;; [unrolled: 1-line block ×3, first 2 shown]
	s_and_saveexec_b64 s[10:11], s[6:7]
	s_cbranch_execz .LBB21_74
; %bb.71:
	s_mov_b64 s[28:29], 0
	v_mov_b32_e32 v10, 0
	v_pk_mov_b32 v[28:29], v[6:7], v[6:7] op_sel:[0,1]
	v_pk_mov_b32 v[30:31], v[2:3], v[2:3] op_sel:[0,1]
	v_mov_b32_e32 v34, v12
	v_mov_b32_e32 v33, 0
	v_mov_b32_e32 v41, 0
.LBB21_72:                              ; =>This Inner Loop Header: Depth=1
	global_load_dword v35, v[30:31], off
	v_add_u32_e32 v34, -1, v34
	v_cmp_eq_u32_e32 vcc, 0, v34
	s_or_b64 s[28:29], vcc, s[28:29]
	s_waitcnt vmcnt(0)
	v_sub_f32_e32 v35, v35, v32
	global_store_dword v[30:31], v35, off
	global_load_dword v40, v[28:29], off
	v_add_co_u32_e32 v30, vcc, 4, v30
	v_addc_co_u32_e32 v31, vcc, 0, v31, vcc
	v_add_co_u32_e32 v28, vcc, 4, v28
	v_addc_co_u32_e32 v29, vcc, 0, v29, vcc
	s_waitcnt vmcnt(0)
	v_div_scale_f32 v42, s[30:31], v35, v35, v40
	v_rcp_f32_e32 v43, v42
	v_div_scale_f32 v44, vcc, v40, v35, v40
	v_fma_f32 v45, -v42, v43, 1.0
	v_fmac_f32_e32 v43, v45, v43
	v_mul_f32_e32 v45, v44, v43
	v_fma_f32 v46, -v42, v45, v44
	v_fmac_f32_e32 v45, v46, v43
	v_fma_f32 v42, -v42, v45, v44
	v_div_fmas_f32 v42, v42, v43, v45
	v_div_fixup_f32 v35, v42, v35, v40
	v_fmac_f32_e32 v41, v40, v35
	v_fmac_f32_e32 v10, v35, v35
	v_add_f32_e32 v33, v33, v41
	s_andn2_b64 exec, exec, s[28:29]
	s_cbranch_execnz .LBB21_72
; %bb.73:
	s_or_b64 exec, exec, s[28:29]
.LBB21_74:
	s_or_b64 exec, exec, s[10:11]
	v_and_b32_e32 v42, 0x7fffffff, v33
                                        ; implicit-def: $sgpr10
                                        ; implicit-def: $vgpr28_vgpr29
                                        ; implicit-def: $vgpr34_vgpr35
	s_and_saveexec_b64 s[28:29], s[8:9]
	s_xor_b64 s[8:9], exec, s[28:29]
	s_cbranch_execz .LBB21_76
; %bb.75:
	v_mov_b32_e32 v28, s19
	v_add_co_u32_e32 v29, vcc, s18, v20
	v_addc_co_u32_e32 v28, vcc, v28, v21, vcc
	v_lshlrev_b64 v[20:21], 2, v[8:9]
	v_add_co_u32_e32 v9, vcc, v29, v20
	v_addc_co_u32_e32 v29, vcc, v28, v21, vcc
	v_mov_b32_e32 v30, s17
	v_add_co_u32_e32 v28, vcc, s16, v9
	s_add_u32 s10, s24, s22
	v_addc_co_u32_e32 v29, vcc, v29, v30, vcc
	s_addc_u32 s11, s25, s23
	v_mov_b32_e32 v9, s11
	v_add_co_u32_e32 v26, vcc, s10, v26
	v_addc_co_u32_e32 v9, vcc, v9, v27, vcc
	v_add_co_u32_e32 v34, vcc, v26, v20
	v_addc_co_u32_e32 v35, vcc, v9, v21, vcc
	s_mov_b32 s10, 0
                                        ; implicit-def: $vgpr20_vgpr21
                                        ; implicit-def: $vgpr26_vgpr27
.LBB21_76:
	s_or_saveexec_b64 s[8:9], s[8:9]
	v_mov_b32_e32 v31, s10
	v_mov_b32_e32 v30, s10
	s_xor_b64 exec, exec, s[8:9]
	s_cbranch_execz .LBB21_80
; %bb.77:
	v_mov_b32_e32 v28, s19
	v_add_co_u32_e32 v20, vcc, s18, v20
	v_addc_co_u32_e32 v21, vcc, v28, v21, vcc
	v_lshlrev_b64 v[30:31], 2, v[8:9]
	v_add_co_u32_e32 v9, vcc, v20, v30
	v_addc_co_u32_e32 v20, vcc, v21, v31, vcc
	v_mov_b32_e32 v21, s17
	v_add_co_u32_e32 v28, vcc, s16, v9
	v_addc_co_u32_e32 v29, vcc, v20, v21, vcc
	v_mov_b32_e32 v9, s15
	v_add_co_u32_e32 v20, vcc, s14, v28
	s_add_u32 s10, s24, s22
	v_addc_co_u32_e32 v21, vcc, v9, v29, vcc
	s_addc_u32 s11, s25, s23
	v_mov_b32_e32 v9, s11
	v_add_co_u32_e32 v26, vcc, s10, v26
	v_addc_co_u32_e32 v9, vcc, v9, v27, vcc
	v_add_co_u32_e32 v34, vcc, v26, v30
	v_addc_co_u32_e32 v35, vcc, v9, v31, vcc
	v_mov_b32_e32 v9, s13
	v_add_co_u32_e32 v26, vcc, s12, v34
	v_mov_b32_e32 v30, 0
	v_addc_co_u32_e32 v27, vcc, v9, v35, vcc
	s_mov_b64 s[10:11], 0
	v_mov_b32_e32 v9, v8
	v_mov_b32_e32 v31, v30
.LBB21_78:                              ; =>This Inner Loop Header: Depth=1
	global_load_dword v33, v[20:21], off
	v_add_u32_e32 v9, -1, v9
	v_cmp_le_i32_e32 vcc, v9, v12
	s_or_b64 s[10:11], vcc, s[10:11]
	s_waitcnt vmcnt(0)
	v_sub_f32_e32 v33, v33, v32
	global_store_dword v[20:21], v33, off
	global_load_dword v45, v[26:27], off
	v_add_co_u32_e32 v20, vcc, -4, v20
	v_addc_co_u32_e32 v21, vcc, -1, v21, vcc
	v_add_co_u32_e32 v26, vcc, -4, v26
	v_addc_co_u32_e32 v27, vcc, -1, v27, vcc
	s_waitcnt vmcnt(0)
	v_div_scale_f32 v40, s[22:23], v33, v33, v45
	v_rcp_f32_e32 v43, v40
	v_div_scale_f32 v44, vcc, v45, v33, v45
	v_fma_f32 v46, -v40, v43, 1.0
	v_fmac_f32_e32 v43, v46, v43
	v_mul_f32_e32 v46, v44, v43
	v_fma_f32 v47, -v40, v46, v44
	v_fmac_f32_e32 v46, v47, v43
	v_fma_f32 v40, -v40, v46, v44
	v_div_fmas_f32 v40, v40, v43, v46
	v_div_fixup_f32 v44, v40, v33, v45
	v_pk_fma_f32 v[30:31], v[44:45], v[44:45], v[30:31] op_sel_hi:[1,0,1]
	v_add_f32_e32 v42, v42, v31
	s_andn2_b64 exec, exec, s[10:11]
	s_cbranch_execnz .LBB21_78
; %bb.79:
	s_or_b64 exec, exec, s[10:11]
.LBB21_80:
	s_or_b64 exec, exec, s[8:9]
	global_load_dword v33, v[24:25], off
	global_load_dword v40, v[22:23], off
	v_add_f32_e32 v9, v11, v32
	v_add_f32_e32 v11, v17, v41
	v_and_b32_e32 v21, 0x7fffffff, v39
	s_mov_b32 s41, 0x41200000
	v_sub_f32_e32 v20, v31, v41
	v_mov_b32_e32 v41, v13
	v_pk_add_f32 v[44:45], v[10:11], v[30:31]
	v_div_scale_f32 v11, s[8:9], s41, s41, v21
	v_fmac_f32_e32 v41, 0x41000000, v20
	v_add_co_u32_e32 v20, vcc, s14, v28
	v_rcp_f32_e32 v28, v11
	v_mov_b32_e32 v26, s15
	v_div_scale_f32 v31, s[8:9], v21, s41, v21
	v_addc_co_u32_e32 v21, vcc, v26, v29, vcc
	v_fma_f32 v29, -v11, v28, 1.0
	v_fmac_f32_e32 v28, v29, v28
	v_mul_f32_e32 v29, v31, v28
	v_fma_f32 v32, -v11, v29, v31
	v_mov_b32_e32 v27, s13
	v_add_co_u32_e32 v26, vcc, s12, v34
	v_fmac_f32_e32 v29, v32, v28
	v_addc_co_u32_e32 v27, vcc, v27, v35, vcc
	v_fma_f32 v11, -v11, v29, v31
	s_mov_b32 s40, 0x40400000
	s_mov_b32 s42, 1
	s_mov_b64 s[10:11], 0
	s_mov_b32 s43, 0xf800000
	s_mov_b32 s44, 0x4f800000
                                        ; implicit-def: $sgpr22_sgpr23
	s_waitcnt vmcnt(0)
	v_div_scale_f32 v32, s[12:13], v40, v40, v33
	v_rcp_f32_e32 v34, v32
	v_div_scale_f32 v31, vcc, v33, v40, v33
                                        ; implicit-def: $sgpr12_sgpr13
	v_fma_f32 v35, -v32, v34, 1.0
	v_fmac_f32_e32 v34, v35, v34
	v_mul_f32_e32 v35, v31, v34
	v_fma_f32 v43, -v32, v35, v31
	v_fmac_f32_e32 v35, v43, v34
	v_fma_f32 v31, -v32, v35, v31
	v_div_fmas_f32 v31, v31, v34, v35
	v_div_fixup_f32 v32, v31, v40, v33
	s_mov_b64 vcc, s[8:9]
	v_pk_mul_f32 v[34:35], v[32:33], v[32:33] op_sel_hi:[1,0]
	v_div_fmas_f32 v11, v11, v28, v29
	v_pk_fma_f32 v[28:29], v[32:33], v[32:33], v[44:45] op_sel_hi:[1,0,1]
	v_fma_f32 v31, |v35|, s40, v41
	v_div_fixup_f32 v11, v11, s41, |v39|
	v_cndmask_b32_e64 v33, v29, -v29, s[0:1]
	v_fma_f32 v31, |v9|, v28, v31
	v_cmp_gt_f32_e64 s[24:25], v33, v11
	v_add_f32_e32 v11, v42, v31
	v_mov_b32_e32 v39, 0x260
	s_branch .LBB21_83
.LBB21_81:                              ;   in Loop: Header=BB21_83 Depth=1
	s_or_b64 exec, exec, s[8:9]
	global_load_dword v33, v[24:25], off
	global_load_dword v40, v[22:23], off
	v_add_f32_e32 v9, v9, v11
	v_add_f32_e32 v11, v17, v28
	v_and_b32_e32 v32, 0x7fffffff, v29
	v_pk_add_f32 v[34:35], v[10:11], v[30:31]
	v_div_scale_f32 v11, s[8:9], s41, s41, v32
	v_sub_f32_e32 v28, v31, v28
	v_rcp_f32_e32 v31, v11
	v_mov_b32_e32 v44, v13
	v_fmac_f32_e32 v44, 0x41000000, v28
	v_div_scale_f32 v28, s[8:9], v32, s41, v32
	v_fma_f32 v32, -v11, v31, 1.0
	v_fmac_f32_e32 v31, v32, v31
	v_mul_f32_e32 v42, v28, v31
	v_fma_f32 v32, -v11, v42, v28
	v_fmac_f32_e32 v42, v32, v31
	v_fma_f32 v11, -v11, v42, v28
	s_add_i32 s42, s42, 1
	s_waitcnt vmcnt(0)
	v_div_scale_f32 v32, s[30:31], v40, v40, v33
	v_rcp_f32_e32 v43, v32
	v_div_scale_f32 v28, vcc, v33, v40, v33
	v_fma_f32 v45, -v32, v43, 1.0
	v_fmac_f32_e32 v43, v45, v43
	v_mul_f32_e32 v45, v28, v43
	v_fma_f32 v46, -v32, v45, v28
	v_fmac_f32_e32 v45, v46, v43
	v_fma_f32 v28, -v32, v45, v28
	v_div_fmas_f32 v28, v28, v43, v45
	v_div_fixup_f32 v32, v28, v40, v33
	s_mov_b64 vcc, s[8:9]
	v_div_fmas_f32 v11, v11, v31, v42
	v_pk_fma_f32 v[34:35], v[32:33], v[32:33], v[34:35] op_sel_hi:[1,0,1]
	v_div_fixup_f32 v11, v11, s41, |v29|
	v_mul_f32_e32 v29, v29, v35
	v_cmp_gt_f32_e64 s[8:9], |v35|, v11
	v_cmp_lt_f32_e32 vcc, 0, v29
	s_and_b64 s[8:9], vcc, s[8:9]
	s_xor_b64 s[8:9], s[24:25], s[8:9]
	v_pk_mul_f32 v[42:43], v[32:33], v[32:33] op_sel_hi:[1,0]
	s_cmp_eq_u32 s42, 50
	v_fma_f32 v28, |v43|, s40, v44
	s_cselect_b64 s[30:31], -1, 0
	s_andn2_b64 s[22:23], s[22:23], exec
	s_and_b64 s[8:9], s[8:9], exec
	v_fma_f32 v11, |v9|, v34, v28
	s_andn2_b64 s[12:13], s[12:13], exec
	s_or_b64 s[22:23], s[22:23], s[8:9]
	s_and_b64 s[8:9], s[30:31], exec
	v_add_f32_e32 v11, v41, v11
	s_or_b64 s[12:13], s[12:13], s[8:9]
	v_pk_mov_b32 v[28:29], v[34:35], v[34:35] op_sel:[0,1]
                                        ; implicit-def: $sgpr24_sgpr25
.LBB21_82:                              ;   in Loop: Header=BB21_83 Depth=1
	s_or_b64 exec, exec, s[28:29]
	s_and_b64 s[8:9], exec, s[12:13]
	s_or_b64 s[10:11], s[8:9], s[10:11]
	s_andn2_b64 s[8:9], s[24:25], exec
	s_and_b64 s[24:25], s[22:23], exec
	s_or_b64 s[24:25], s[8:9], s[24:25]
	s_andn2_b64 exec, exec, s[10:11]
	s_cbranch_execz .LBB21_126
.LBB21_83:                              ; =>This Loop Header: Depth=1
                                        ;     Child Loop BB21_120 Depth 2
                                        ;     Child Loop BB21_124 Depth 2
	v_mul_f32_e32 v11, s39, v11
	v_cmp_nle_f32_e64 s[8:9], |v29|, v11
	s_andn2_b64 s[22:23], s[22:23], exec
	s_or_b64 s[12:13], s[12:13], exec
                                        ; implicit-def: $vgpr11
	s_and_saveexec_b64 s[28:29], s[8:9]
	s_cbranch_execz .LBB21_82
; %bb.84:                               ;   in Loop: Header=BB21_83 Depth=1
	global_load_dwordx2 v[34:35], v[4:5], off
	s_xor_b64 s[30:31], s[24:25], -1
                                        ; implicit-def: $vgpr33
	s_and_saveexec_b64 s[8:9], s[30:31]
	s_xor_b64 s[8:9], exec, s[8:9]
	s_cbranch_execz .LBB21_86
; %bb.85:                               ;   in Loop: Header=BB21_83 Depth=1
	v_fma_f32 v11, v32, v32, v10
	v_fma_f32 v31, v32, v32, v30
	v_cndmask_b32_e64 v10, v10, v11, s[0:1]
	v_cndmask_b32_e64 v30, v31, v30, s[0:1]
	s_waitcnt vmcnt(0)
	v_fma_f32 v11, -v10, v34, v29
	v_fma_f32 v33, -v30, v35, v11
.LBB21_86:                              ;   in Loop: Header=BB21_83 Depth=1
	s_andn2_saveexec_b64 s[8:9], s[8:9]
	s_cbranch_execz .LBB21_92
; %bb.87:                               ;   in Loop: Header=BB21_83 Depth=1
                                        ; implicit-def: $vgpr33
	s_and_saveexec_b64 s[34:35], s[2:3]
	s_xor_b64 s[34:35], exec, s[34:35]
	s_cbranch_execz .LBB21_89
; %bb.88:                               ;   in Loop: Header=BB21_83 Depth=1
	global_load_dword v11, v[14:15], off offset:4
	s_waitcnt vmcnt(0)
	v_mul_f32_e32 v31, v16, v11
	v_mul_f32_e32 v11, v11, v31
	v_div_scale_f32 v31, s[36:37], v35, v35, v11
	v_rcp_f32_e32 v32, v31
	v_div_scale_f32 v33, vcc, v11, v35, v11
	v_fma_f32 v41, -v31, v32, 1.0
	v_fmac_f32_e32 v32, v41, v32
	v_mul_f32_e32 v41, v33, v32
	v_fma_f32 v42, -v31, v41, v33
	v_fmac_f32_e32 v41, v42, v32
	v_fma_f32 v31, -v31, v41, v33
	v_div_fmas_f32 v31, v31, v32, v41
	v_div_fixup_f32 v11, v31, v35, v11
	v_div_scale_f32 v31, s[36:37], v35, v35, v11
	v_rcp_f32_e32 v32, v31
	v_div_scale_f32 v41, vcc, v11, v35, v11
	v_fma_f32 v33, -v28, v34, v29
	v_fma_f32 v42, -v31, v32, 1.0
	v_fmac_f32_e32 v32, v42, v32
	v_mul_f32_e32 v42, v41, v32
	v_fma_f32 v43, -v31, v42, v41
	v_fmac_f32_e32 v42, v43, v32
	v_fma_f32 v31, -v31, v42, v41
	v_div_fmas_f32 v31, v31, v32, v42
	v_div_fixup_f32 v11, v31, v35, v11
	v_sub_f32_e32 v33, v33, v11
.LBB21_89:                              ;   in Loop: Header=BB21_83 Depth=1
	s_andn2_saveexec_b64 s[34:35], s[34:35]
	s_cbranch_execz .LBB21_91
; %bb.90:                               ;   in Loop: Header=BB21_83 Depth=1
	global_load_dword v11, v[14:15], off
	s_waitcnt vmcnt(0)
	v_mul_f32_e32 v31, v19, v11
	v_mul_f32_e32 v11, v11, v31
	v_div_scale_f32 v31, s[36:37], v34, v34, v11
	v_rcp_f32_e32 v32, v31
	v_div_scale_f32 v33, vcc, v11, v34, v11
	v_fma_f32 v41, -v31, v32, 1.0
	v_fmac_f32_e32 v32, v41, v32
	v_mul_f32_e32 v41, v33, v32
	v_fma_f32 v42, -v31, v41, v33
	v_fmac_f32_e32 v41, v42, v32
	v_fma_f32 v31, -v31, v41, v33
	v_div_fmas_f32 v31, v31, v32, v41
	v_div_fixup_f32 v11, v31, v34, v11
	v_div_scale_f32 v31, s[36:37], v34, v34, v11
	v_rcp_f32_e32 v32, v31
	v_div_scale_f32 v41, vcc, v11, v34, v11
	v_fma_f32 v33, -v28, v35, v29
	v_fma_f32 v42, -v31, v32, 1.0
	v_fmac_f32_e32 v32, v42, v32
	v_mul_f32_e32 v42, v41, v32
	v_fma_f32 v43, -v31, v42, v41
	v_fmac_f32_e32 v42, v43, v32
	v_fma_f32 v31, -v31, v42, v41
	v_div_fmas_f32 v31, v31, v32, v42
	v_div_fixup_f32 v11, v31, v34, v11
	v_sub_f32_e32 v33, v33, v11
.LBB21_91:                              ;   in Loop: Header=BB21_83 Depth=1
	s_or_b64 exec, exec, s[34:35]
.LBB21_92:                              ;   in Loop: Header=BB21_83 Depth=1
	s_or_b64 exec, exec, s[8:9]
	s_waitcnt vmcnt(0)
	v_mul_f32_e32 v31, v34, v35
	v_add_f32_e32 v11, v34, v35
	v_mul_f32_e32 v32, v28, v31
	v_fma_f32 v32, v29, v11, -v32
	v_mul_f32_e32 v31, v29, v31
	v_cmp_neq_f32_e32 vcc, 0, v33
                                        ; implicit-def: $vgpr11
	s_and_saveexec_b64 s[8:9], vcc
	s_xor_b64 s[34:35], exec, s[8:9]
	s_cbranch_execz .LBB21_98
; %bb.93:                               ;   in Loop: Header=BB21_83 Depth=1
	v_mul_f32_e32 v10, -4.0, v31
	v_mul_f32_e32 v10, v10, v33
	v_fmac_f32_e32 v10, v32, v32
	v_mul_f32_e64 v11, |v10|, s44
	v_cmp_lt_f32_e64 vcc, |v10|, s43
	v_cndmask_b32_e64 v10, |v10|, v11, vcc
	v_sqrt_f32_e32 v11, v10
	v_add_u32_e32 v30, -1, v11
	v_fma_f32 v35, -v30, v11, v10
	v_add_u32_e32 v34, 1, v11
	v_cmp_ge_f32_e64 s[8:9], 0, v35
	v_cndmask_b32_e64 v30, v11, v30, s[8:9]
	v_fma_f32 v11, -v34, v11, v10
	v_cmp_lt_f32_e64 s[8:9], 0, v11
	v_cndmask_b32_e64 v11, v30, v34, s[8:9]
	v_mul_f32_e32 v30, 0x37800000, v11
	v_cndmask_b32_e32 v11, v11, v30, vcc
	v_cmp_class_f32_e32 vcc, v10, v39
	v_cndmask_b32_e32 v10, v11, v10, vcc
	v_cmp_ge_f32_e32 vcc, 0, v32
                                        ; implicit-def: $vgpr11
	s_and_saveexec_b64 s[8:9], vcc
	s_xor_b64 s[8:9], exec, s[8:9]
	s_cbranch_execz .LBB21_95
; %bb.94:                               ;   in Loop: Header=BB21_83 Depth=1
	v_sub_f32_e32 v10, v32, v10
	v_add_f32_e32 v11, v33, v33
	v_div_scale_f32 v30, s[36:37], v11, v11, v10
	v_rcp_f32_e32 v31, v30
	v_fma_f32 v32, -v30, v31, 1.0
	v_fmac_f32_e32 v31, v32, v31
	v_div_scale_f32 v32, vcc, v10, v11, v10
	v_mul_f32_e32 v33, v32, v31
	v_fma_f32 v34, -v30, v33, v32
	v_fmac_f32_e32 v33, v34, v31
	v_fma_f32 v30, -v30, v33, v32
	v_div_fmas_f32 v30, v30, v31, v33
	v_div_fixup_f32 v11, v30, v11, v10
                                        ; implicit-def: $vgpr31
                                        ; implicit-def: $vgpr32
                                        ; implicit-def: $vgpr10
.LBB21_95:                              ;   in Loop: Header=BB21_83 Depth=1
	s_andn2_saveexec_b64 s[8:9], s[8:9]
	s_cbranch_execz .LBB21_97
; %bb.96:                               ;   in Loop: Header=BB21_83 Depth=1
	v_add_f32_e32 v11, v31, v31
	v_add_f32_e32 v10, v32, v10
	v_div_scale_f32 v30, s[36:37], v10, v10, v11
	v_rcp_f32_e32 v31, v30
	v_fma_f32 v32, -v30, v31, 1.0
	v_fmac_f32_e32 v31, v32, v31
	v_div_scale_f32 v32, vcc, v11, v10, v11
	v_mul_f32_e32 v33, v32, v31
	v_fma_f32 v34, -v30, v33, v32
	v_fmac_f32_e32 v33, v34, v31
	v_fma_f32 v30, -v30, v33, v32
	v_div_fmas_f32 v30, v30, v31, v33
	v_div_fixup_f32 v11, v30, v10, v11
.LBB21_97:                              ;   in Loop: Header=BB21_83 Depth=1
	s_or_b64 exec, exec, s[8:9]
                                        ; implicit-def: $vgpr32
                                        ; implicit-def: $vgpr31
                                        ; implicit-def: $vgpr34_vgpr35
                                        ; implicit-def: $vgpr30
                                        ; implicit-def: $vgpr10
.LBB21_98:                              ;   in Loop: Header=BB21_83 Depth=1
	s_andn2_saveexec_b64 s[8:9], s[34:35]
	s_cbranch_execz .LBB21_110
; %bb.99:                               ;   in Loop: Header=BB21_83 Depth=1
	v_cmp_eq_f32_e32 vcc, 0, v32
	s_and_saveexec_b64 s[34:35], vcc
	s_cbranch_execz .LBB21_109
; %bb.100:                              ;   in Loop: Header=BB21_83 Depth=1
                                        ; implicit-def: $vgpr32
	s_and_saveexec_b64 s[36:37], s[30:31]
	s_xor_b64 s[30:31], exec, s[36:37]
; %bb.101:                              ;   in Loop: Header=BB21_83 Depth=1
	v_mul_f32_e32 v32, v35, v35
	v_mul_f32_e32 v11, v34, v34
	;; [unrolled: 1-line block ×3, first 2 shown]
	v_fmac_f32_e32 v32, v11, v10
                                        ; implicit-def: $vgpr34_vgpr35
                                        ; implicit-def: $vgpr10
                                        ; implicit-def: $vgpr30
; %bb.102:                              ;   in Loop: Header=BB21_83 Depth=1
	s_andn2_saveexec_b64 s[30:31], s[30:31]
	s_cbranch_execz .LBB21_108
; %bb.103:                              ;   in Loop: Header=BB21_83 Depth=1
	v_add_f32_e32 v10, v10, v30
                                        ; implicit-def: $vgpr32
	s_and_saveexec_b64 s[36:37], s[2:3]
	s_xor_b64 s[36:37], exec, s[36:37]
	s_cbranch_execz .LBB21_105
; %bb.104:                              ;   in Loop: Header=BB21_83 Depth=1
	global_load_dword v11, v[14:15], off offset:4
	s_waitcnt vmcnt(0)
	v_mul_f32_e32 v32, v11, v11
	v_mul_f32_e32 v11, v34, v34
	v_fmac_f32_e32 v32, v11, v10
                                        ; implicit-def: $vgpr34_vgpr35
                                        ; implicit-def: $vgpr10
.LBB21_105:                             ;   in Loop: Header=BB21_83 Depth=1
	s_andn2_saveexec_b64 s[36:37], s[36:37]
	s_cbranch_execz .LBB21_107
; %bb.106:                              ;   in Loop: Header=BB21_83 Depth=1
	global_load_dword v11, v[14:15], off
	s_waitcnt vmcnt(0)
	v_mul_f32_e32 v32, v11, v11
	v_mul_f32_e32 v11, v35, v35
	v_fmac_f32_e32 v32, v11, v10
.LBB21_107:                             ;   in Loop: Header=BB21_83 Depth=1
	s_or_b64 exec, exec, s[36:37]
.LBB21_108:                             ;   in Loop: Header=BB21_83 Depth=1
	s_or_b64 exec, exec, s[30:31]
.LBB21_109:                             ;   in Loop: Header=BB21_83 Depth=1
	s_or_b64 exec, exec, s[34:35]
	v_div_scale_f32 v10, s[30:31], v32, v32, v31
	v_rcp_f32_e32 v11, v10
	v_div_scale_f32 v30, vcc, v31, v32, v31
	v_fma_f32 v33, -v10, v11, 1.0
	v_fmac_f32_e32 v11, v33, v11
	v_mul_f32_e32 v33, v30, v11
	v_fma_f32 v34, -v10, v33, v30
	v_fmac_f32_e32 v33, v34, v11
	v_fma_f32 v10, -v10, v33, v30
	v_div_fmas_f32 v10, v10, v11, v33
	v_div_fixup_f32 v11, v10, v32, v31
.LBB21_110:                             ;   in Loop: Header=BB21_83 Depth=1
	s_or_b64 exec, exec, s[8:9]
	v_mul_f32_e32 v10, v29, v11
	v_cmp_le_f32_e32 vcc, 0, v10
	s_and_saveexec_b64 s[8:9], vcc
; %bb.111:                              ;   in Loop: Header=BB21_83 Depth=1
	v_div_scale_f32 v10, s[30:31], v28, v28, -v29
	v_rcp_f32_e32 v11, v10
	v_div_scale_f32 v30, vcc, -v29, v28, -v29
	v_fma_f32 v31, -v10, v11, 1.0
	v_fmac_f32_e32 v11, v31, v11
	v_mul_f32_e32 v31, v30, v11
	v_fma_f32 v32, -v10, v31, v30
	v_fmac_f32_e32 v31, v32, v11
	v_fma_f32 v10, -v10, v31, v30
	v_div_fmas_f32 v10, v10, v11, v31
	v_div_fixup_f32 v11, v10, v28, -v29
; %bb.112:                              ;   in Loop: Header=BB21_83 Depth=1
	s_or_b64 exec, exec, s[8:9]
	v_cmp_lt_f32_e32 vcc, v37, v9
	v_cndmask_b32_e32 v10, v37, v9, vcc
	v_cmp_nge_f32_e32 vcc, 0, v29
	v_cndmask_b32_e32 v37, v10, v37, vcc
	v_cmp_lt_f32_e32 vcc, 0, v29
	v_cmp_lt_f32_e64 s[8:9], v9, v38
	s_and_b64 vcc, vcc, s[8:9]
	v_cndmask_b32_e32 v38, v38, v9, vcc
	v_add_f32_e32 v10, v9, v11
	v_cmp_gt_f32_e32 vcc, v10, v38
	v_cmp_lt_f32_e64 s[8:9], v10, v37
	s_or_b64 s[30:31], vcc, s[8:9]
	s_and_saveexec_b64 s[8:9], s[30:31]
	s_cbranch_execz .LBB21_118
; %bb.113:                              ;   in Loop: Header=BB21_83 Depth=1
	v_cmp_ngt_f32_e32 vcc, 0, v29
                                        ; implicit-def: $vgpr11
	s_and_saveexec_b64 s[30:31], vcc
	s_xor_b64 s[30:31], exec, s[30:31]
; %bb.114:                              ;   in Loop: Header=BB21_83 Depth=1
	v_sub_f32_e32 v10, v37, v9
	v_mul_f32_e32 v11, 0.5, v10
; %bb.115:                              ;   in Loop: Header=BB21_83 Depth=1
	s_andn2_saveexec_b64 s[30:31], s[30:31]
; %bb.116:                              ;   in Loop: Header=BB21_83 Depth=1
	v_sub_f32_e32 v10, v38, v9
	v_mul_f32_e32 v11, 0.5, v10
; %bb.117:                              ;   in Loop: Header=BB21_83 Depth=1
	s_or_b64 exec, exec, s[30:31]
.LBB21_118:                             ;   in Loop: Header=BB21_83 Depth=1
	s_or_b64 exec, exec, s[8:9]
	v_sub_f32_e32 v10, v40, v11
	global_store_dword v[22:23], v10, off
	v_mov_b32_e32 v10, 0
	v_mov_b32_e32 v34, 0
	;; [unrolled: 1-line block ×3, first 2 shown]
	s_and_saveexec_b64 s[8:9], s[6:7]
	s_cbranch_execz .LBB21_122
; %bb.119:                              ;   in Loop: Header=BB21_83 Depth=1
	s_mov_b64 s[30:31], 0
	v_mov_b32_e32 v10, 0
	v_pk_mov_b32 v[30:31], v[6:7], v[6:7] op_sel:[0,1]
	v_pk_mov_b32 v[32:33], v[2:3], v[2:3] op_sel:[0,1]
	v_mov_b32_e32 v35, v12
	v_mov_b32_e32 v34, 0
	;; [unrolled: 1-line block ×3, first 2 shown]
.LBB21_120:                             ;   Parent Loop BB21_83 Depth=1
                                        ; =>  This Inner Loop Header: Depth=2
	global_load_dword v40, v[32:33], off
	v_add_u32_e32 v35, -1, v35
	v_cmp_eq_u32_e32 vcc, 0, v35
	s_or_b64 s[30:31], vcc, s[30:31]
	s_waitcnt vmcnt(0)
	v_sub_f32_e32 v40, v40, v11
	global_store_dword v[32:33], v40, off
	global_load_dword v41, v[30:31], off
	v_add_co_u32_e32 v32, vcc, 4, v32
	v_addc_co_u32_e32 v33, vcc, 0, v33, vcc
	v_add_co_u32_e32 v30, vcc, 4, v30
	v_addc_co_u32_e32 v31, vcc, 0, v31, vcc
	s_waitcnt vmcnt(0)
	v_div_scale_f32 v42, s[34:35], v40, v40, v41
	v_rcp_f32_e32 v43, v42
	v_div_scale_f32 v44, vcc, v41, v40, v41
	v_fma_f32 v45, -v42, v43, 1.0
	v_fmac_f32_e32 v43, v45, v43
	v_mul_f32_e32 v45, v44, v43
	v_fma_f32 v46, -v42, v45, v44
	v_fmac_f32_e32 v45, v46, v43
	v_fma_f32 v42, -v42, v45, v44
	v_div_fmas_f32 v42, v42, v43, v45
	v_div_fixup_f32 v40, v42, v40, v41
	v_fmac_f32_e32 v28, v41, v40
	v_fmac_f32_e32 v10, v40, v40
	v_add_f32_e32 v34, v34, v28
	s_andn2_b64 exec, exec, s[30:31]
	s_cbranch_execnz .LBB21_120
; %bb.121:                              ;   in Loop: Header=BB21_83 Depth=1
	s_or_b64 exec, exec, s[30:31]
.LBB21_122:                             ;   in Loop: Header=BB21_83 Depth=1
	s_or_b64 exec, exec, s[8:9]
	v_mov_b32_e32 v31, 0
	v_and_b32_e32 v41, 0x7fffffff, v34
	v_mov_b32_e32 v30, v31
	s_and_saveexec_b64 s[8:9], s[4:5]
	s_cbranch_execz .LBB21_81
; %bb.123:                              ;   in Loop: Header=BB21_83 Depth=1
	v_mov_b32_e32 v30, 0
	s_mov_b64 s[30:31], 0
	v_pk_mov_b32 v[32:33], v[26:27], v[26:27] op_sel:[0,1]
	v_pk_mov_b32 v[34:35], v[20:21], v[20:21] op_sel:[0,1]
	v_mov_b32_e32 v40, v8
	v_mov_b32_e32 v31, v30
.LBB21_124:                             ;   Parent Loop BB21_83 Depth=1
                                        ; =>  This Inner Loop Header: Depth=2
	global_load_dword v42, v[34:35], off
	v_add_u32_e32 v40, -1, v40
	v_cmp_le_i32_e32 vcc, v40, v12
	s_or_b64 s[30:31], vcc, s[30:31]
	s_waitcnt vmcnt(0)
	v_sub_f32_e32 v42, v42, v11
	global_store_dword v[34:35], v42, off
	global_load_dword v43, v[32:33], off
	v_add_co_u32_e32 v34, vcc, -4, v34
	v_addc_co_u32_e32 v35, vcc, -1, v35, vcc
	v_add_co_u32_e32 v32, vcc, -4, v32
	v_addc_co_u32_e32 v33, vcc, -1, v33, vcc
	s_waitcnt vmcnt(0)
	v_div_scale_f32 v44, s[34:35], v42, v42, v43
	v_rcp_f32_e32 v45, v44
	v_div_scale_f32 v46, vcc, v43, v42, v43
	v_fma_f32 v47, -v44, v45, 1.0
	v_fmac_f32_e32 v45, v47, v45
	v_mul_f32_e32 v47, v46, v45
	v_fma_f32 v48, -v44, v47, v46
	v_fmac_f32_e32 v47, v48, v45
	v_fma_f32 v44, -v44, v47, v46
	v_div_fmas_f32 v44, v44, v45, v47
	v_div_fixup_f32 v42, v44, v42, v43
	v_pk_fma_f32 v[30:31], v[42:43], v[42:43], v[30:31] op_sel_hi:[1,0,1]
	v_add_f32_e32 v41, v41, v31
	s_andn2_b64 exec, exec, s[30:31]
	s_cbranch_execnz .LBB21_124
; %bb.125:                              ;   in Loop: Header=BB21_83 Depth=1
	s_or_b64 exec, exec, s[30:31]
	s_branch .LBB21_81
.LBB21_126:
	s_or_b64 exec, exec, s[10:11]
	v_add_f32_e32 v35, v18, v9
.LBB21_127:
	s_or_b64 exec, exec, s[26:27]
                                        ; implicit-def: $vgpr16
                                        ; implicit-def: $vgpr18
                                        ; implicit-def: $vgpr24
                                        ; implicit-def: $vgpr22
                                        ; implicit-def: $vgpr2_vgpr3
                                        ; implicit-def: $vgpr6_vgpr7
                                        ; implicit-def: $vgpr4_vgpr5
                                        ; implicit-def: $vgpr10
                                        ; implicit-def: $vgpr20_vgpr21
                                        ; implicit-def: $vgpr14_vgpr15
.LBB21_128:
	s_andn2_saveexec_b64 s[6:7], s[20:21]
	s_cbranch_execz .LBB21_203
; %bb.129:
	v_ashrrev_i32_e32 v25, 31, v24
	v_lshlrev_b64 v[12:13], 2, v[24:25]
	v_add_co_u32_e32 v8, vcc, v2, v12
	v_addc_co_u32_e32 v9, vcc, v3, v13, vcc
	global_load_dword v17, v[8:9], off offset:-8
	s_waitcnt vmcnt(1)
	v_fma_f32 v19, |v36|, 0.5, v10
	v_cmp_lt_i32_e32 vcc, 2, v24
	v_mov_b32_e32 v11, 0
	s_and_saveexec_b64 s[0:1], vcc
	s_cbranch_execz .LBB21_133
; %bb.130:
	v_add_u32_e32 v23, -2, v24
	s_mov_b64 s[2:3], 0
	v_mov_b32_e32 v11, 0
	v_pk_mov_b32 v[26:27], v[6:7], v[6:7] op_sel:[0,1]
	v_pk_mov_b32 v[28:29], v[2:3], v[2:3] op_sel:[0,1]
.LBB21_131:                             ; =>This Inner Loop Header: Depth=1
	global_load_dword v25, v[28:29], off
	global_load_dword v30, v[26:27], off
	v_add_co_u32_e32 v28, vcc, 4, v28
	v_addc_co_u32_e32 v29, vcc, 0, v29, vcc
	v_add_co_u32_e32 v26, vcc, 4, v26
	v_add_u32_e32 v23, -1, v23
	v_addc_co_u32_e32 v27, vcc, 0, v27, vcc
	v_cmp_eq_u32_e32 vcc, 0, v23
	s_or_b64 s[2:3], vcc, s[2:3]
	s_waitcnt vmcnt(1)
	v_sub_f32_e32 v25, v25, v19
	s_waitcnt vmcnt(0)
	v_div_scale_f32 v31, s[4:5], v25, v25, v30
	v_rcp_f32_e32 v32, v31
	v_div_scale_f32 v33, vcc, v30, v25, v30
	v_fma_f32 v34, -v31, v32, 1.0
	v_fmac_f32_e32 v32, v34, v32
	v_mul_f32_e32 v34, v33, v32
	v_fma_f32 v35, -v31, v34, v33
	v_fmac_f32_e32 v34, v35, v32
	v_fma_f32 v31, -v31, v34, v33
	v_div_fmas_f32 v31, v31, v32, v34
	v_div_fixup_f32 v25, v31, v25, v30
	v_fmac_f32_e32 v11, v30, v25
	s_andn2_b64 exec, exec, s[2:3]
	s_cbranch_execnz .LBB21_131
; %bb.132:
	s_or_b64 exec, exec, s[2:3]
.LBB21_133:
	s_or_b64 exec, exec, s[0:1]
	v_add_co_u32_e32 v26, vcc, v6, v12
	v_addc_co_u32_e32 v27, vcc, v7, v13, vcc
	v_add_co_u32_e32 v12, vcc, v6, v14
	v_addc_co_u32_e32 v13, vcc, v7, v15, vcc
	global_load_dword v30, v[26:27], off offset:-8
	global_load_dword v31, v[12:13], off
	v_and_b32_e32 v23, 0x7fffffff, v36
	v_div_scale_f32 v14, s[0:1], v23, v23, 1.0
	v_rcp_f32_e32 v15, v14
	v_div_scale_f32 v25, vcc, 1.0, v23, 1.0
	s_waitcnt vmcnt(2)
	v_sub_f32_e32 v19, v17, v19
	v_fma_f32 v26, -v14, v15, 1.0
	v_fmac_f32_e32 v15, v26, v15
	v_mul_f32_e32 v26, v25, v15
	v_fma_f32 v27, -v14, v26, v25
	v_fmac_f32_e32 v26, v27, v15
	v_fma_f32 v14, -v14, v26, v25
	v_div_fmas_f32 v14, v14, v15, v26
	v_div_fixup_f32 v14, v14, |v36|, 1.0
	v_add_f32_e32 v11, v14, v11
	v_mul_f32_e64 v28, |v36|, 0.5
	s_waitcnt vmcnt(0)
	v_pk_mul_f32 v[26:27], v[30:31], v[30:31]
	v_div_scale_f32 v15, s[0:1], v19, v19, v26
	v_rcp_f32_e32 v25, v15
	v_div_scale_f32 v29, vcc, v26, v19, v26
	v_add_f32_e32 v30, v27, v27
	v_fma_f32 v31, -v15, v25, 1.0
	v_fmac_f32_e32 v25, v31, v25
	v_mul_f32_e32 v31, v29, v25
	v_fma_f32 v32, -v15, v31, v29
	v_fmac_f32_e32 v31, v32, v25
	v_fma_f32 v15, -v15, v31, v29
	v_div_fmas_f32 v15, v15, v25, v31
	v_div_fixup_f32 v15, v15, v19, v26
	v_mul_f32_e32 v30, v14, v30
	v_add_f32_e32 v15, v11, v15
	v_cmp_ngt_f32_e32 vcc, v15, v30
	v_sub_f32_e32 v15, v10, v17
                                        ; implicit-def: $vgpr29
	s_and_saveexec_b64 s[0:1], vcc
	s_xor_b64 s[2:3], exec, s[0:1]
	s_cbranch_execz .LBB21_141
; %bb.134:
	v_div_scale_f32 v17, s[0:1], v23, v23, v27
	v_rcp_f32_e32 v19, v17
	v_add_f32_e64 v25, |v36|, v15
	v_fma_f32 v29, -v17, v19, 1.0
	v_fmac_f32_e32 v19, v29, v19
	v_div_scale_f32 v29, vcc, v27, v23, v27
	v_mul_f32_e32 v30, v29, v19
	v_fma_f32 v31, -v17, v30, v29
	v_fmac_f32_e32 v30, v31, v19
	v_fma_f32 v17, -v17, v30, v29
	v_div_scale_f32 v29, s[0:1], v25, v25, v26
	v_rcp_f32_e32 v31, v29
	v_div_fmas_f32 v17, v17, v19, v30
	v_div_fixup_f32 v17, v17, |v36|, v27
	v_fma_f32 v19, -v29, v31, 1.0
	v_fmac_f32_e32 v31, v19, v31
	v_div_scale_f32 v19, vcc, v26, v25, v26
	v_mul_f32_e32 v30, v19, v31
	v_fma_f32 v32, -v29, v30, v19
	v_fmac_f32_e32 v30, v32, v31
	v_fma_f32 v19, -v29, v30, v19
	v_div_fmas_f32 v19, v19, v31, v30
	v_div_fixup_f32 v19, v19, v25, v26
	v_add_f32_e32 v17, v19, v17
	v_cmp_nle_f32_e32 vcc, v11, v17
	v_mov_b32_e32 v29, v23
	s_and_saveexec_b64 s[4:5], vcc
	s_cbranch_execz .LBB21_140
; %bb.135:
	v_fma_f32 v17, -v15, v11, v26
	v_mul_f32_e32 v15, v15, v27
	v_mul_f32_e32 v19, 4.0, v15
	v_add_f32_e32 v17, v27, v17
	v_mul_f32_e32 v19, v11, v19
	v_fmac_f32_e32 v19, v17, v17
	s_mov_b32 s0, 0xf800000
	v_mul_f32_e32 v25, 0x4f800000, v19
	v_cmp_gt_f32_e32 vcc, s0, v19
	v_cndmask_b32_e32 v19, v19, v25, vcc
	v_sqrt_f32_e32 v25, v19
	v_add_u32_e32 v26, -1, v25
	v_fma_f32 v27, -v26, v25, v19
	v_cmp_ge_f32_e64 s[0:1], 0, v27
	v_add_u32_e32 v27, 1, v25
	v_cndmask_b32_e64 v26, v25, v26, s[0:1]
	v_fma_f32 v25, -v27, v25, v19
	v_cmp_lt_f32_e64 s[0:1], 0, v25
	v_cndmask_b32_e64 v25, v26, v27, s[0:1]
	v_mul_f32_e32 v26, 0x37800000, v25
	v_cndmask_b32_e32 v25, v25, v26, vcc
	v_mov_b32_e32 v26, 0x260
	v_cmp_class_f32_e32 vcc, v19, v26
	v_cndmask_b32_e32 v25, v25, v19, vcc
	v_cmp_ngt_f32_e32 vcc, 0, v17
                                        ; implicit-def: $vgpr19
	s_and_saveexec_b64 s[0:1], vcc
	s_xor_b64 s[0:1], exec, s[0:1]
	s_cbranch_execz .LBB21_137
; %bb.136:
	v_add_f32_e32 v15, v17, v25
	v_add_f32_e32 v11, v11, v11
	v_div_scale_f32 v17, s[8:9], v11, v11, v15
	v_rcp_f32_e32 v19, v17
	v_fma_f32 v25, -v17, v19, 1.0
	v_fmac_f32_e32 v19, v25, v19
	v_div_scale_f32 v25, vcc, v15, v11, v15
	v_mul_f32_e32 v26, v25, v19
	v_fma_f32 v27, -v17, v26, v25
	v_fmac_f32_e32 v26, v27, v19
	v_fma_f32 v17, -v17, v26, v25
	v_div_fmas_f32 v17, v17, v19, v26
	v_div_fixup_f32 v19, v17, v11, v15
                                        ; implicit-def: $vgpr15
                                        ; implicit-def: $vgpr25
                                        ; implicit-def: $vgpr17
.LBB21_137:
	s_andn2_saveexec_b64 s[0:1], s[0:1]
	s_cbranch_execz .LBB21_139
; %bb.138:
	v_add_f32_e32 v11, v15, v15
	v_sub_f32_e32 v15, v25, v17
	v_div_scale_f32 v17, s[8:9], v15, v15, v11
	v_rcp_f32_e32 v19, v17
	v_fma_f32 v25, -v17, v19, 1.0
	v_fmac_f32_e32 v19, v25, v19
	v_div_scale_f32 v25, vcc, v11, v15, v11
	v_mul_f32_e32 v26, v25, v19
	v_fma_f32 v27, -v17, v26, v25
	v_fmac_f32_e32 v26, v27, v19
	v_fma_f32 v17, -v17, v26, v25
	v_div_fmas_f32 v17, v17, v19, v26
	v_div_fixup_f32 v19, v17, v15, v11
.LBB21_139:
	s_or_b64 exec, exec, s[0:1]
	v_mov_b32_e32 v29, v23
	v_mov_b32_e32 v23, v19
.LBB21_140:
	s_or_b64 exec, exec, s[4:5]
                                        ; implicit-def: $vgpr15
                                        ; implicit-def: $vgpr11
                                        ; implicit-def: $vgpr26_vgpr27
.LBB21_141:
	s_andn2_saveexec_b64 s[2:3], s[2:3]
	s_cbranch_execz .LBB21_147
; %bb.142:
	v_fma_f32 v17, -v15, v11, v26
	v_mul_f32_e32 v15, v15, v27
	v_mul_f32_e32 v19, 4.0, v15
	v_add_f32_e32 v17, v27, v17
	v_mul_f32_e32 v19, v11, v19
	v_fmac_f32_e32 v19, v17, v17
	s_mov_b32 s0, 0xf800000
	v_mul_f32_e32 v23, 0x4f800000, v19
	v_cmp_gt_f32_e32 vcc, s0, v19
	v_cndmask_b32_e32 v19, v19, v23, vcc
	v_sqrt_f32_e32 v23, v19
	s_mov_b32 s4, 0
	v_add_u32_e32 v25, -1, v23
	v_fma_f32 v26, -v25, v23, v19
	v_cmp_ge_f32_e64 s[0:1], 0, v26
	v_add_u32_e32 v26, 1, v23
	v_cndmask_b32_e64 v25, v23, v25, s[0:1]
	v_fma_f32 v23, -v26, v23, v19
	v_cmp_lt_f32_e64 s[0:1], 0, v23
	v_cndmask_b32_e64 v23, v25, v26, s[0:1]
	v_mul_f32_e32 v25, 0x37800000, v23
	v_cndmask_b32_e32 v23, v23, v25, vcc
	v_mov_b32_e32 v25, 0x260
	v_cmp_class_f32_e32 vcc, v19, v25
	v_cndmask_b32_e32 v19, v23, v19, vcc
	v_cmp_ngt_f32_e32 vcc, 0, v17
                                        ; implicit-def: $vgpr23
	s_and_saveexec_b64 s[0:1], vcc
	s_xor_b64 s[0:1], exec, s[0:1]
	s_cbranch_execz .LBB21_144
; %bb.143:
	v_add_f32_e32 v15, v17, v19
	v_add_f32_e32 v11, v11, v11
	v_div_scale_f32 v17, s[8:9], v11, v11, v15
	v_rcp_f32_e32 v19, v17
	v_fma_f32 v23, -v17, v19, 1.0
	v_fmac_f32_e32 v19, v23, v19
	v_div_scale_f32 v23, vcc, v15, v11, v15
	v_mul_f32_e32 v25, v23, v19
	v_fma_f32 v26, -v17, v25, v23
	v_fmac_f32_e32 v25, v26, v19
	v_fma_f32 v17, -v17, v25, v23
	v_div_fmas_f32 v17, v17, v19, v25
	v_div_fixup_f32 v23, v17, v11, v15
                                        ; implicit-def: $vgpr15
                                        ; implicit-def: $vgpr19
                                        ; implicit-def: $vgpr17
.LBB21_144:
	s_or_saveexec_b64 s[0:1], s[0:1]
	v_mov_b32_e32 v11, s4
	s_xor_b64 exec, exec, s[0:1]
	s_cbranch_execz .LBB21_146
; %bb.145:
	v_add_f32_e32 v11, v15, v15
	v_sub_f32_e32 v15, v19, v17
	v_div_scale_f32 v17, s[4:5], v15, v15, v11
	v_rcp_f32_e32 v19, v17
	v_fma_f32 v23, -v17, v19, 1.0
	v_fmac_f32_e32 v19, v23, v19
	v_div_scale_f32 v23, vcc, v11, v15, v11
	v_mul_f32_e32 v25, v23, v19
	v_fma_f32 v26, -v17, v25, v23
	v_fmac_f32_e32 v25, v26, v19
	v_fma_f32 v17, -v17, v25, v23
	v_div_fmas_f32 v17, v17, v19, v25
	v_div_fixup_f32 v23, v17, v15, v11
	v_mov_b32_e32 v11, 0
.LBB21_146:
	s_or_b64 exec, exec, s[0:1]
	v_mov_b32_e32 v29, v28
	v_mov_b32_e32 v28, v11
.LBB21_147:
	s_or_b64 exec, exec, s[2:3]
	v_cmp_lt_i32_e64 s[0:1], 1, v24
	v_mov_b32_e32 v11, v10
	s_and_saveexec_b64 s[2:3], s[0:1]
	s_cbranch_execz .LBB21_156
; %bb.148:
	v_cmp_lt_u32_e32 vcc, 1, v22
	s_mov_b64 s[8:9], -1
	v_mov_b32_e32 v24, 0
	s_and_saveexec_b64 s[4:5], vcc
	s_cbranch_execz .LBB21_152
; %bb.149:
	v_and_b32_e32 v24, -2, v22
	v_mov_b32_e32 v11, v10
	s_mov_b64 s[8:9], 0
	v_mov_b32_e32 v15, v24
	v_pk_mov_b32 v[26:27], v[2:3], v[2:3] op_sel:[0,1]
.LBB21_150:                             ; =>This Inner Loop Header: Depth=1
	global_load_dwordx2 v[30:31], v[26:27], off
	v_add_u32_e32 v15, -2, v15
	v_cmp_eq_u32_e32 vcc, 0, v15
	s_or_b64 s[8:9], vcc, s[8:9]
	s_waitcnt vmcnt(0)
	v_pk_add_f32 v[30:31], v[30:31], v[10:11] neg_lo:[0,1] neg_hi:[0,1]
	global_store_dwordx2 v[26:27], v[30:31], off
	v_add_co_u32_e32 v26, vcc, 8, v26
	v_addc_co_u32_e32 v27, vcc, 0, v27, vcc
	s_andn2_b64 exec, exec, s[8:9]
	s_cbranch_execnz .LBB21_150
; %bb.151:
	s_or_b64 exec, exec, s[8:9]
	v_cmp_ne_u32_e32 vcc, v22, v24
	s_orn2_b64 s[8:9], vcc, exec
.LBB21_152:
	s_or_b64 exec, exec, s[4:5]
	s_and_saveexec_b64 s[4:5], s[8:9]
	s_cbranch_execz .LBB21_155
; %bb.153:
	v_sub_u32_e32 v11, v16, v24
	v_sub_u32_e32 v11, v11, v18
	v_mov_b32_e32 v15, s19
	v_add_co_u32_e32 v18, vcc, s18, v20
	v_mov_b32_e32 v25, 0
	v_addc_co_u32_e32 v15, vcc, v15, v21, vcc
	v_lshlrev_b64 v[16:17], 2, v[24:25]
	v_add_co_u32_e32 v16, vcc, v18, v16
	s_add_u32 s8, s14, s16
	v_addc_co_u32_e32 v15, vcc, v15, v17, vcc
	s_addc_u32 s9, s15, s17
	v_mov_b32_e32 v17, s9
	v_add_co_u32_e32 v16, vcc, s8, v16
	v_addc_co_u32_e32 v17, vcc, v17, v15, vcc
	s_mov_b64 s[8:9], 0
.LBB21_154:                             ; =>This Inner Loop Header: Depth=1
	global_load_dword v15, v[16:17], off
	v_add_u32_e32 v11, -1, v11
	v_cmp_eq_u32_e32 vcc, 0, v11
	s_or_b64 s[8:9], vcc, s[8:9]
	s_waitcnt vmcnt(0)
	v_sub_f32_e32 v15, v15, v10
	global_store_dword v[16:17], v15, off
	v_add_co_u32_e32 v16, vcc, 4, v16
	v_addc_co_u32_e32 v17, vcc, 0, v17, vcc
	s_andn2_b64 exec, exec, s[8:9]
	s_cbranch_execnz .LBB21_154
.LBB21_155:
	s_or_b64 exec, exec, s[4:5]
	global_load_dword v11, v[4:5], off
.LBB21_156:
	s_or_b64 exec, exec, s[2:3]
	s_waitcnt vmcnt(0)
	v_sub_f32_e32 v16, v11, v10
	v_mov_b32_e32 v11, 0
	v_mov_b32_e32 v15, 0
	;; [unrolled: 1-line block ×3, first 2 shown]
	global_store_dword v[4:5], v16, off
	s_and_saveexec_b64 s[2:3], s[0:1]
	s_cbranch_execz .LBB21_160
; %bb.157:
	s_mov_b64 s[4:5], 0
	v_mov_b32_e32 v11, 0
	v_pk_mov_b32 v[16:17], v[6:7], v[6:7] op_sel:[0,1]
	v_pk_mov_b32 v[20:21], v[2:3], v[2:3] op_sel:[0,1]
	v_mov_b32_e32 v19, v22
	v_mov_b32_e32 v15, 0
	;; [unrolled: 1-line block ×3, first 2 shown]
.LBB21_158:                             ; =>This Inner Loop Header: Depth=1
	global_load_dword v24, v[20:21], off
	v_add_u32_e32 v19, -1, v19
	v_cmp_eq_u32_e32 vcc, 0, v19
	s_or_b64 s[4:5], vcc, s[4:5]
	s_waitcnt vmcnt(0)
	v_sub_f32_e32 v24, v24, v23
	global_store_dword v[20:21], v24, off
	global_load_dword v25, v[16:17], off
	v_add_co_u32_e32 v20, vcc, 4, v20
	v_addc_co_u32_e32 v21, vcc, 0, v21, vcc
	v_add_co_u32_e32 v16, vcc, 4, v16
	v_addc_co_u32_e32 v17, vcc, 0, v17, vcc
	s_waitcnt vmcnt(0)
	v_div_scale_f32 v26, s[8:9], v24, v24, v25
	v_rcp_f32_e32 v27, v26
	v_div_scale_f32 v30, vcc, v25, v24, v25
	v_fma_f32 v31, -v26, v27, 1.0
	v_fmac_f32_e32 v27, v31, v27
	v_mul_f32_e32 v31, v30, v27
	v_fma_f32 v32, -v26, v31, v30
	v_fmac_f32_e32 v31, v32, v27
	v_fma_f32 v26, -v26, v31, v30
	v_div_fmas_f32 v26, v26, v27, v31
	v_div_fixup_f32 v24, v26, v24, v25
	v_fmac_f32_e32 v18, v25, v24
	v_fmac_f32_e32 v11, v24, v24
	v_add_f32_e32 v15, v15, v18
	s_andn2_b64 exec, exec, s[4:5]
	s_cbranch_execnz .LBB21_158
; %bb.159:
	s_or_b64 exec, exec, s[4:5]
	global_load_dword v16, v[4:5], off
.LBB21_160:
	s_or_b64 exec, exec, s[2:3]
	s_waitcnt vmcnt(0)
	v_sub_f32_e32 v16, v16, v23
	global_store_dword v[4:5], v16, off
	global_load_dword v20, v[12:13], off
	v_and_b32_e32 v24, 0x7fffffff, v15
	v_mov_b32_e32 v19, 0
	v_mov_b32_e32 v25, v14
	;; [unrolled: 1-line block ×3, first 2 shown]
	s_waitcnt vmcnt(0)
	v_div_scale_f32 v15, s[2:3], v16, v16, v20
	v_rcp_f32_e32 v21, v15
	v_div_scale_f32 v26, vcc, v20, v16, v20
	v_fma_f32 v27, -v15, v21, 1.0
	v_fmac_f32_e32 v21, v27, v21
	v_mul_f32_e32 v27, v26, v21
	v_fma_f32 v30, -v15, v27, v26
	v_fmac_f32_e32 v27, v30, v21
	v_fma_f32 v15, -v15, v27, v26
	v_div_fmas_f32 v15, v15, v21, v27
	v_div_fixup_f32 v21, v15, v16, v20
	v_mul_f32_e32 v15, v20, v21
	v_pk_add_f32 v[26:27], v[14:15], v[18:19]
	v_add_f32_e32 v15, v18, v27
	v_fma_f32 v20, v21, v21, v11
	v_mul_f32_e32 v15, 0xc1000000, v15
	v_fma_f32 v15, |v23|, v20, v15
	v_sub_f32_e32 v31, v15, v27
	v_mov_b32_e32 v30, v27
	v_pk_add_f32 v[24:25], v[24:25], v[30:31]
	v_add_f32_e32 v15, v24, v25
	v_add_f32_e32 v19, v26, v27
	v_mul_f32_e32 v15, s39, v15
	v_cmp_nle_f32_e64 s[2:3], |v19|, v15
	s_and_saveexec_b64 s[8:9], s[2:3]
	s_cbranch_execz .LBB21_202
; %bb.161:
	global_load_dword v24, v[8:9], off offset:-8
	v_mul_f32_e32 v15, v21, v21
	v_cmp_lt_f32_e32 vcc, 0, v19
	v_cmp_lt_f32_e64 s[2:3], v23, v29
	s_and_b64 s[2:3], s[2:3], vcc
	s_waitcnt vmcnt(0)
	v_fma_f32 v11, -v11, v24, v19
	v_fma_f32 v18, -v16, v15, v11
	v_cmp_neq_f32_e32 vcc, 0, v18
                                        ; implicit-def: $vgpr15
	s_and_saveexec_b64 s[4:5], vcc
	s_xor_b64 s[10:11], exec, s[4:5]
	s_cbranch_execz .LBB21_167
; %bb.162:
	v_mul_f32_e32 v15, v16, v24
	v_add_f32_e32 v11, v16, v24
	v_mul_f32_e32 v21, v20, v15
	v_fma_f32 v11, v19, v11, -v21
	v_mul_f32_e32 v21, v19, v15
	v_mul_f32_e32 v15, -4.0, v21
	v_mul_f32_e64 v15, v15, |v18|
	v_fmac_f32_e32 v15, v11, v11
	s_mov_b32 s4, 0xf800000
	s_mov_b32 s5, 0x4f800000
	v_mul_f32_e64 v24, |v15|, s5
	v_cmp_lt_f32_e64 vcc, |v15|, s4
	v_cndmask_b32_e64 v15, |v15|, v24, vcc
	v_sqrt_f32_e32 v24, v15
	v_add_u32_e32 v25, -1, v24
	v_fma_f32 v26, -v25, v24, v15
	v_cmp_ge_f32_e64 s[4:5], 0, v26
	v_add_u32_e32 v26, 1, v24
	v_cndmask_b32_e64 v25, v24, v25, s[4:5]
	v_fma_f32 v24, -v26, v24, v15
	v_cmp_lt_f32_e64 s[4:5], 0, v24
	v_cndmask_b32_e64 v24, v25, v26, s[4:5]
	v_mul_f32_e32 v25, 0x37800000, v24
	v_cndmask_b32_e32 v24, v24, v25, vcc
	v_mov_b32_e32 v25, 0x260
	v_cmp_class_f32_e32 vcc, v15, v25
	v_cndmask_b32_e32 v24, v24, v15, vcc
	v_cmp_le_f32_e32 vcc, 0, v11
                                        ; implicit-def: $vgpr15
	s_and_saveexec_b64 s[4:5], vcc
	s_xor_b64 s[4:5], exec, s[4:5]
	s_cbranch_execz .LBB21_164
; %bb.163:
	v_add_f32_e32 v11, v11, v24
	v_add_f32_e64 v15, |v18|, |v18|
	v_div_scale_f32 v18, s[12:13], v15, v15, v11
	v_rcp_f32_e32 v21, v18
	v_fma_f32 v24, -v18, v21, 1.0
	v_fmac_f32_e32 v21, v24, v21
	v_div_scale_f32 v24, vcc, v11, v15, v11
	v_mul_f32_e32 v25, v24, v21
	v_fma_f32 v26, -v18, v25, v24
	v_fmac_f32_e32 v25, v26, v21
	v_fma_f32 v18, -v18, v25, v24
	v_div_fmas_f32 v18, v18, v21, v25
	v_div_fixup_f32 v15, v18, v15, v11
                                        ; implicit-def: $vgpr21
                                        ; implicit-def: $vgpr11
                                        ; implicit-def: $vgpr24
.LBB21_164:
	s_andn2_saveexec_b64 s[4:5], s[4:5]
	s_cbranch_execz .LBB21_166
; %bb.165:
	v_add_f32_e32 v15, v21, v21
	v_sub_f32_e32 v11, v11, v24
	v_div_scale_f32 v18, s[12:13], v11, v11, v15
	v_rcp_f32_e32 v21, v18
	v_fma_f32 v24, -v18, v21, 1.0
	v_fmac_f32_e32 v21, v24, v21
	v_div_scale_f32 v24, vcc, v15, v11, v15
	v_mul_f32_e32 v25, v24, v21
	v_fma_f32 v26, -v18, v25, v24
	v_fmac_f32_e32 v25, v26, v21
	v_fma_f32 v18, -v18, v25, v24
	v_div_fmas_f32 v18, v18, v21, v25
	v_div_fixup_f32 v15, v18, v11, v15
.LBB21_166:
	s_or_b64 exec, exec, s[4:5]
.LBB21_167:
	s_or_saveexec_b64 s[4:5], s[10:11]
	v_cndmask_b32_e64 v11, v29, v23, s[2:3]
	s_xor_b64 exec, exec, s[4:5]
; %bb.168:
	v_sub_f32_e32 v15, v11, v23
; %bb.169:
	s_or_b64 exec, exec, s[4:5]
	v_mul_f32_e32 v18, v19, v15
	v_cmp_lt_f32_e32 vcc, 0, v18
	s_and_saveexec_b64 s[2:3], vcc
; %bb.170:
	v_div_scale_f32 v15, s[4:5], v20, v20, -v19
	v_rcp_f32_e32 v18, v15
	v_div_scale_f32 v21, vcc, -v19, v20, -v19
	v_fma_f32 v24, -v15, v18, 1.0
	v_fmac_f32_e32 v18, v24, v18
	v_mul_f32_e32 v24, v21, v18
	v_fma_f32 v25, -v15, v24, v21
	v_fmac_f32_e32 v24, v25, v18
	v_fma_f32 v15, -v15, v24, v21
	v_div_fmas_f32 v15, v15, v18, v24
	v_div_fixup_f32 v15, v15, v20, -v19
; %bb.171:
	s_or_b64 exec, exec, s[2:3]
	v_cmp_lt_f32_e32 vcc, v28, v23
	v_cndmask_b32_e32 v18, v28, v23, vcc
	v_cmp_nge_f32_e32 vcc, 0, v19
	v_cndmask_b32_e32 v26, v18, v28, vcc
	v_add_f32_e32 v18, v23, v15
	v_cmp_gt_f32_e32 vcc, v18, v11
	v_cmp_lt_f32_e64 s[2:3], v18, v26
	s_or_b64 s[4:5], vcc, s[2:3]
	s_and_saveexec_b64 s[2:3], s[4:5]
	s_cbranch_execz .LBB21_177
; %bb.172:
	v_cmp_ngt_f32_e32 vcc, 0, v19
                                        ; implicit-def: $vgpr15
	s_and_saveexec_b64 s[4:5], vcc
	s_xor_b64 s[4:5], exec, s[4:5]
; %bb.173:
	v_sub_f32_e32 v15, v26, v23
	v_mul_f32_e32 v15, 0.5, v15
; %bb.174:
	s_andn2_saveexec_b64 s[4:5], s[4:5]
; %bb.175:
	v_sub_f32_e32 v15, v11, v23
	v_mul_f32_e32 v15, 0.5, v15
; %bb.176:
	s_or_b64 exec, exec, s[4:5]
.LBB21_177:
	s_or_b64 exec, exec, s[2:3]
	v_mov_b32_e32 v28, 0
	v_mov_b32_e32 v19, 0
	;; [unrolled: 1-line block ×3, first 2 shown]
	s_and_saveexec_b64 s[2:3], s[0:1]
	s_cbranch_execz .LBB21_181
; %bb.178:
	s_mov_b64 s[4:5], 0
	v_mov_b32_e32 v28, 0
	v_pk_mov_b32 v[20:21], v[6:7], v[6:7] op_sel:[0,1]
	v_pk_mov_b32 v[24:25], v[2:3], v[2:3] op_sel:[0,1]
	v_mov_b32_e32 v16, v22
	v_mov_b32_e32 v19, 0
	;; [unrolled: 1-line block ×3, first 2 shown]
.LBB21_179:                             ; =>This Inner Loop Header: Depth=1
	global_load_dword v27, v[24:25], off
	v_add_u32_e32 v16, -1, v16
	v_cmp_eq_u32_e32 vcc, 0, v16
	s_or_b64 s[4:5], vcc, s[4:5]
	s_waitcnt vmcnt(0)
	v_sub_f32_e32 v27, v27, v15
	global_store_dword v[24:25], v27, off
	global_load_dword v29, v[20:21], off
	v_add_co_u32_e32 v24, vcc, 4, v24
	v_addc_co_u32_e32 v25, vcc, 0, v25, vcc
	v_add_co_u32_e32 v20, vcc, 4, v20
	v_addc_co_u32_e32 v21, vcc, 0, v21, vcc
	s_waitcnt vmcnt(0)
	v_div_scale_f32 v30, s[10:11], v27, v27, v29
	v_rcp_f32_e32 v31, v30
	v_div_scale_f32 v32, vcc, v29, v27, v29
	v_fma_f32 v33, -v30, v31, 1.0
	v_fmac_f32_e32 v31, v33, v31
	v_mul_f32_e32 v33, v32, v31
	v_fma_f32 v34, -v30, v33, v32
	v_fmac_f32_e32 v33, v34, v31
	v_fma_f32 v30, -v30, v33, v32
	v_div_fmas_f32 v30, v30, v31, v33
	v_div_fixup_f32 v27, v30, v27, v29
	v_fmac_f32_e32 v18, v29, v27
	v_fmac_f32_e32 v28, v27, v27
	v_add_f32_e32 v19, v19, v18
	s_andn2_b64 exec, exec, s[4:5]
	s_cbranch_execnz .LBB21_179
; %bb.180:
	s_or_b64 exec, exec, s[4:5]
	global_load_dword v16, v[4:5], off
.LBB21_181:
	s_or_b64 exec, exec, s[2:3]
	s_waitcnt vmcnt(0)
	v_sub_f32_e32 v20, v16, v15
	global_store_dword v[4:5], v20, off
	global_load_dword v24, v[12:13], off
	v_add_f32_e32 v23, v23, v15
	v_and_b32_e32 v16, 0x7fffffff, v19
	v_mov_b32_e32 v19, 0
	s_waitcnt vmcnt(0)
	v_div_scale_f32 v15, s[2:3], v20, v20, v24
	v_rcp_f32_e32 v21, v15
	v_div_scale_f32 v25, vcc, v24, v20, v24
	v_fma_f32 v27, -v15, v21, 1.0
	v_fmac_f32_e32 v21, v27, v21
	v_mul_f32_e32 v27, v25, v21
	v_fma_f32 v29, -v15, v27, v25
	v_fmac_f32_e32 v27, v29, v21
	v_fma_f32 v15, -v15, v27, v25
	v_div_fmas_f32 v15, v15, v21, v27
	v_div_fixup_f32 v21, v15, v20, v24
	v_mul_f32_e32 v15, v24, v21
	v_pk_add_f32 v[24:25], v[14:15], v[18:19]
	v_add_f32_e32 v18, v18, v25
	v_fma_f32 v27, v21, v21, v28
	v_mul_f32_e32 v18, 0xc1000000, v18
	v_fma_f32 v18, |v23|, v27, v18
	v_sub_f32_e32 v31, v18, v25
	v_mov_b32_e32 v30, v25
	v_add_f32_e32 v15, v24, v25
	v_pk_add_f32 v[24:25], v[16:17], v[30:31]
	v_add_f32_e32 v16, v24, v25
	v_mul_f32_e32 v16, s39, v16
	v_cmp_nle_f32_e64 s[2:3], |v15|, v16
	s_and_saveexec_b64 s[4:5], s[2:3]
	s_cbranch_execz .LBB21_201
; %bb.182:
	v_mul_f32_e32 v21, v21, v21
	s_mov_b32 s16, 1
	s_mov_b64 s[10:11], 0
	s_mov_b32 s14, 0xf800000
	s_mov_b32 s15, 0x4f800000
	v_mov_b32_e32 v27, 0x260
	s_branch .LBB21_184
.LBB21_183:                             ;   in Loop: Header=BB21_184 Depth=1
	s_or_b64 exec, exec, s[2:3]
	s_waitcnt vmcnt(0)
	v_sub_f32_e32 v20, v20, v16
	global_store_dword v[4:5], v20, off
	global_load_dword v21, v[12:13], off
	v_add_f32_e32 v23, v23, v16
	v_and_b32_e32 v16, 0x7fffffff, v15
	s_add_i32 s12, s16, 1
	s_cmp_gt_u32 s16, 48
	s_mov_b32 s16, s12
	s_waitcnt vmcnt(0)
	v_div_scale_f32 v15, s[2:3], v20, v20, v21
	v_rcp_f32_e32 v24, v15
	v_div_scale_f32 v25, vcc, v21, v20, v21
	s_cselect_b64 s[2:3], -1, 0
	v_fma_f32 v29, -v15, v24, 1.0
	v_fmac_f32_e32 v24, v29, v24
	v_mul_f32_e32 v29, v25, v24
	v_fma_f32 v30, -v15, v29, v25
	v_fmac_f32_e32 v29, v30, v24
	v_fma_f32 v15, -v15, v29, v25
	v_div_fmas_f32 v15, v15, v24, v29
	v_div_fixup_f32 v24, v15, v20, v21
	v_mul_f32_e32 v15, v21, v24
	v_mul_f32_e32 v21, v24, v24
	v_fma_f32 v29, v24, v24, v28
	v_pk_add_f32 v[24:25], v[14:15], v[18:19]
	v_add_f32_e32 v18, v18, v25
	v_mul_f32_e32 v18, 0xc1000000, v18
	v_fma_f32 v18, |v23|, v29, v18
	v_add_f32_e32 v15, v24, v25
	v_mov_b32_e32 v24, v25
	v_sub_f32_e32 v25, v18, v25
	v_pk_add_f32 v[24:25], v[16:17], v[24:25]
	v_add_f32_e32 v16, v24, v25
	v_and_b32_e32 v18, 0x7fffffff, v15
	v_mul_f32_e32 v16, s39, v16
	v_cmp_le_f32_e32 vcc, v18, v16
	s_or_b64 s[2:3], s[2:3], vcc
	s_and_b64 s[2:3], exec, s[2:3]
	s_or_b64 s[10:11], s[2:3], s[10:11]
	s_andn2_b64 exec, exec, s[10:11]
	s_cbranch_execz .LBB21_200
.LBB21_184:                             ; =>This Loop Header: Depth=1
                                        ;     Child Loop BB21_198 Depth 2
	global_load_dword v16, v[8:9], off offset:-8
	v_add_f32_e32 v18, v21, v28
	s_waitcnt vmcnt(0)
	v_fma_f32 v24, -v28, v16, v15
	v_add_f32_e32 v28, v20, v16
	v_mul_f32_e32 v16, v20, v16
	v_fma_f32 v25, -v20, v21, v24
	v_mul_f32_e32 v24, v15, v16
	v_mul_f32_e32 v21, v18, v16
	v_mul_f32_e32 v16, -4.0, v24
	v_fma_f32 v21, v15, v28, -v21
	v_mul_f32_e32 v16, v16, v25
	v_fmac_f32_e32 v16, v21, v21
	v_mul_f32_e64 v28, |v16|, s15
	v_cmp_lt_f32_e64 vcc, |v16|, s14
	v_cndmask_b32_e64 v16, |v16|, v28, vcc
	v_sqrt_f32_e32 v28, v16
	v_add_u32_e32 v29, -1, v28
	v_add_u32_e32 v30, 1, v28
	v_fma_f32 v31, -v29, v28, v16
	v_fma_f32 v32, -v30, v28, v16
	v_cmp_ge_f32_e64 s[2:3], 0, v31
	v_cndmask_b32_e64 v28, v28, v29, s[2:3]
	v_cmp_lt_f32_e64 s[2:3], 0, v32
	v_cndmask_b32_e64 v28, v28, v30, s[2:3]
	v_mul_f32_e32 v29, 0x37800000, v28
	v_cndmask_b32_e32 v28, v28, v29, vcc
	v_cmp_class_f32_e32 vcc, v16, v27
	v_cndmask_b32_e32 v28, v28, v16, vcc
	v_cmp_le_f32_e32 vcc, 0, v21
                                        ; implicit-def: $vgpr16
	s_and_saveexec_b64 s[2:3], vcc
	s_xor_b64 s[2:3], exec, s[2:3]
	s_cbranch_execz .LBB21_186
; %bb.185:                              ;   in Loop: Header=BB21_184 Depth=1
	v_add_f32_e32 v16, v21, v28
	v_add_f32_e32 v21, v25, v25
	v_div_scale_f32 v24, s[12:13], v21, v21, v16
	v_rcp_f32_e32 v25, v24
	v_fma_f32 v28, -v24, v25, 1.0
	v_fmac_f32_e32 v25, v28, v25
	v_div_scale_f32 v28, vcc, v16, v21, v16
	v_mul_f32_e32 v29, v28, v25
	v_fma_f32 v30, -v24, v29, v28
	v_fmac_f32_e32 v29, v30, v25
	v_fma_f32 v24, -v24, v29, v28
	v_div_fmas_f32 v24, v24, v25, v29
	v_div_fixup_f32 v16, v24, v21, v16
                                        ; implicit-def: $vgpr24
                                        ; implicit-def: $vgpr21
                                        ; implicit-def: $vgpr28
.LBB21_186:                             ;   in Loop: Header=BB21_184 Depth=1
	s_andn2_saveexec_b64 s[2:3], s[2:3]
	s_cbranch_execz .LBB21_188
; %bb.187:                              ;   in Loop: Header=BB21_184 Depth=1
	v_add_f32_e32 v16, v24, v24
	v_sub_f32_e32 v21, v21, v28
	v_div_scale_f32 v24, s[12:13], v21, v21, v16
	v_rcp_f32_e32 v25, v24
	v_fma_f32 v28, -v24, v25, 1.0
	v_fmac_f32_e32 v25, v28, v25
	v_div_scale_f32 v28, vcc, v16, v21, v16
	v_mul_f32_e32 v29, v28, v25
	v_fma_f32 v30, -v24, v29, v28
	v_fmac_f32_e32 v29, v30, v25
	v_fma_f32 v24, -v24, v29, v28
	v_div_fmas_f32 v24, v24, v25, v29
	v_div_fixup_f32 v16, v24, v21, v16
.LBB21_188:                             ;   in Loop: Header=BB21_184 Depth=1
	s_or_b64 exec, exec, s[2:3]
	v_mul_f32_e32 v21, v15, v16
	v_cmp_lt_f32_e32 vcc, 0, v21
	s_and_saveexec_b64 s[2:3], vcc
; %bb.189:                              ;   in Loop: Header=BB21_184 Depth=1
	v_div_scale_f32 v16, s[12:13], v18, v18, -v15
	v_rcp_f32_e32 v21, v16
	v_div_scale_f32 v24, vcc, -v15, v18, -v15
	v_fma_f32 v25, -v16, v21, 1.0
	v_fmac_f32_e32 v21, v25, v21
	v_mul_f32_e32 v25, v24, v21
	v_fma_f32 v28, -v16, v25, v24
	v_fmac_f32_e32 v25, v28, v21
	v_fma_f32 v16, -v16, v25, v24
	v_div_fmas_f32 v16, v16, v21, v25
	v_div_fixup_f32 v16, v16, v18, -v15
; %bb.190:                              ;   in Loop: Header=BB21_184 Depth=1
	s_or_b64 exec, exec, s[2:3]
	v_cmp_lt_f32_e32 vcc, v26, v23
	v_cndmask_b32_e32 v18, v26, v23, vcc
	v_cmp_nge_f32_e32 vcc, 0, v15
	v_cndmask_b32_e32 v26, v18, v26, vcc
	v_cmp_lt_f32_e32 vcc, 0, v15
	v_cmp_lt_f32_e64 s[2:3], v23, v11
	s_and_b64 vcc, vcc, s[2:3]
	v_cndmask_b32_e32 v11, v11, v23, vcc
	v_add_f32_e32 v18, v23, v16
	v_cmp_gt_f32_e32 vcc, v18, v11
	v_cmp_lt_f32_e64 s[2:3], v18, v26
	s_or_b64 s[12:13], vcc, s[2:3]
	s_and_saveexec_b64 s[2:3], s[12:13]
	s_cbranch_execz .LBB21_196
; %bb.191:                              ;   in Loop: Header=BB21_184 Depth=1
	v_cmp_ngt_f32_e32 vcc, 0, v15
                                        ; implicit-def: $vgpr16
	s_and_saveexec_b64 s[12:13], vcc
	s_xor_b64 s[12:13], exec, s[12:13]
; %bb.192:                              ;   in Loop: Header=BB21_184 Depth=1
	v_sub_f32_e32 v15, v26, v23
	v_mul_f32_e32 v16, 0.5, v15
; %bb.193:                              ;   in Loop: Header=BB21_184 Depth=1
	s_andn2_saveexec_b64 s[12:13], s[12:13]
; %bb.194:                              ;   in Loop: Header=BB21_184 Depth=1
	v_sub_f32_e32 v15, v11, v23
	v_mul_f32_e32 v16, 0.5, v15
; %bb.195:                              ;   in Loop: Header=BB21_184 Depth=1
	s_or_b64 exec, exec, s[12:13]
.LBB21_196:                             ;   in Loop: Header=BB21_184 Depth=1
	s_or_b64 exec, exec, s[2:3]
	v_mov_b32_e32 v28, 0
	v_mov_b32_e32 v15, 0
	;; [unrolled: 1-line block ×3, first 2 shown]
	s_and_saveexec_b64 s[2:3], s[0:1]
	s_cbranch_execz .LBB21_183
; %bb.197:                              ;   in Loop: Header=BB21_184 Depth=1
	v_mov_b32_e32 v28, 0
	s_mov_b64 s[12:13], 0
	v_pk_mov_b32 v[20:21], v[6:7], v[6:7] op_sel:[0,1]
	v_pk_mov_b32 v[24:25], v[2:3], v[2:3] op_sel:[0,1]
	v_mov_b32_e32 v29, v22
	v_mov_b32_e32 v15, 0
	v_mov_b32_e32 v18, v28
.LBB21_198:                             ;   Parent Loop BB21_184 Depth=1
                                        ; =>  This Inner Loop Header: Depth=2
	global_load_dword v30, v[24:25], off
	v_add_u32_e32 v29, -1, v29
	v_cmp_eq_u32_e32 vcc, 0, v29
	s_or_b64 s[12:13], vcc, s[12:13]
	s_waitcnt vmcnt(0)
	v_sub_f32_e32 v30, v30, v16
	global_store_dword v[24:25], v30, off
	global_load_dword v31, v[20:21], off
	v_add_co_u32_e32 v24, vcc, 4, v24
	v_addc_co_u32_e32 v25, vcc, 0, v25, vcc
	v_add_co_u32_e32 v20, vcc, 4, v20
	v_addc_co_u32_e32 v21, vcc, 0, v21, vcc
	s_waitcnt vmcnt(0)
	v_div_scale_f32 v32, s[18:19], v30, v30, v31
	v_rcp_f32_e32 v33, v32
	v_div_scale_f32 v34, vcc, v31, v30, v31
	v_fma_f32 v35, -v32, v33, 1.0
	v_fmac_f32_e32 v33, v35, v33
	v_mul_f32_e32 v35, v34, v33
	v_fma_f32 v37, -v32, v35, v34
	v_fmac_f32_e32 v35, v37, v33
	v_fma_f32 v32, -v32, v35, v34
	v_div_fmas_f32 v32, v32, v33, v35
	v_div_fixup_f32 v30, v32, v30, v31
	v_fmac_f32_e32 v18, v31, v30
	v_fmac_f32_e32 v28, v30, v30
	v_add_f32_e32 v15, v15, v18
	s_andn2_b64 exec, exec, s[12:13]
	s_cbranch_execnz .LBB21_198
; %bb.199:                              ;   in Loop: Header=BB21_184 Depth=1
	s_or_b64 exec, exec, s[12:13]
	global_load_dword v20, v[4:5], off
	s_branch .LBB21_183
.LBB21_200:
	s_or_b64 exec, exec, s[10:11]
.LBB21_201:
	s_or_b64 exec, exec, s[4:5]
.LBB21_202:
	s_or_b64 exec, exec, s[8:9]
	v_add_f32_e32 v35, v10, v23
.LBB21_203:
	s_or_b64 exec, exec, s[6:7]
	v_mov_b32_e32 v2, s38
	v_add_co_u32_e32 v0, vcc, s33, v0
	v_addc_co_u32_e32 v1, vcc, v2, v1, vcc
	s_waitcnt vmcnt(1)
	v_cmp_gt_f32_e32 vcc, 0, v36
	global_store_dword v[0:1], v35, off
	s_and_b64 exec, exec, vcc
	s_cbranch_execz .LBB21_205
; %bb.204:
	v_xor_b32_e32 v2, 0x80000000, v35
	global_store_dword v[0:1], v2, off
.LBB21_205:
	s_endpgm
	.section	.rodata,"a",@progbits
	.p2align	6, 0x0
	.amdhsa_kernel _ZN9rocsolver6v33100L30stedc_mergeValues_Solve_kernelIfEEviiPT_lS3_lS3_S3_PiS2_S2_S2_
		.amdhsa_group_segment_fixed_size 0
		.amdhsa_private_segment_fixed_size 0
		.amdhsa_kernarg_size 336
		.amdhsa_user_sgpr_count 6
		.amdhsa_user_sgpr_private_segment_buffer 1
		.amdhsa_user_sgpr_dispatch_ptr 0
		.amdhsa_user_sgpr_queue_ptr 0
		.amdhsa_user_sgpr_kernarg_segment_ptr 1
		.amdhsa_user_sgpr_dispatch_id 0
		.amdhsa_user_sgpr_flat_scratch_init 0
		.amdhsa_user_sgpr_kernarg_preload_length 0
		.amdhsa_user_sgpr_kernarg_preload_offset 0
		.amdhsa_user_sgpr_private_segment_size 0
		.amdhsa_uses_dynamic_stack 0
		.amdhsa_system_sgpr_private_segment_wavefront_offset 0
		.amdhsa_system_sgpr_workgroup_id_x 1
		.amdhsa_system_sgpr_workgroup_id_y 1
		.amdhsa_system_sgpr_workgroup_id_z 0
		.amdhsa_system_sgpr_workgroup_info 0
		.amdhsa_system_vgpr_workitem_id 0
		.amdhsa_next_free_vgpr 49
		.amdhsa_next_free_sgpr 45
		.amdhsa_accum_offset 52
		.amdhsa_reserve_vcc 1
		.amdhsa_reserve_flat_scratch 0
		.amdhsa_float_round_mode_32 0
		.amdhsa_float_round_mode_16_64 0
		.amdhsa_float_denorm_mode_32 3
		.amdhsa_float_denorm_mode_16_64 3
		.amdhsa_dx10_clamp 1
		.amdhsa_ieee_mode 1
		.amdhsa_fp16_overflow 0
		.amdhsa_tg_split 0
		.amdhsa_exception_fp_ieee_invalid_op 0
		.amdhsa_exception_fp_denorm_src 0
		.amdhsa_exception_fp_ieee_div_zero 0
		.amdhsa_exception_fp_ieee_overflow 0
		.amdhsa_exception_fp_ieee_underflow 0
		.amdhsa_exception_fp_ieee_inexact 0
		.amdhsa_exception_int_div_zero 0
	.end_amdhsa_kernel
	.section	.text._ZN9rocsolver6v33100L30stedc_mergeValues_Solve_kernelIfEEviiPT_lS3_lS3_S3_PiS2_S2_S2_,"axG",@progbits,_ZN9rocsolver6v33100L30stedc_mergeValues_Solve_kernelIfEEviiPT_lS3_lS3_S3_PiS2_S2_S2_,comdat
.Lfunc_end21:
	.size	_ZN9rocsolver6v33100L30stedc_mergeValues_Solve_kernelIfEEviiPT_lS3_lS3_S3_PiS2_S2_S2_, .Lfunc_end21-_ZN9rocsolver6v33100L30stedc_mergeValues_Solve_kernelIfEEviiPT_lS3_lS3_S3_PiS2_S2_S2_
                                        ; -- End function
	.section	.AMDGPU.csdata,"",@progbits
; Kernel info:
; codeLenInByte = 11476
; NumSgprs: 49
; NumVgprs: 49
; NumAgprs: 0
; TotalNumVgprs: 49
; ScratchSize: 0
; MemoryBound: 0
; FloatMode: 240
; IeeeMode: 1
; LDSByteSize: 0 bytes/workgroup (compile time only)
; SGPRBlocks: 6
; VGPRBlocks: 6
; NumSGPRsForWavesPerEU: 49
; NumVGPRsForWavesPerEU: 49
; AccumOffset: 52
; Occupancy: 8
; WaveLimiterHint : 1
; COMPUTE_PGM_RSRC2:SCRATCH_EN: 0
; COMPUTE_PGM_RSRC2:USER_SGPR: 6
; COMPUTE_PGM_RSRC2:TRAP_HANDLER: 0
; COMPUTE_PGM_RSRC2:TGID_X_EN: 1
; COMPUTE_PGM_RSRC2:TGID_Y_EN: 1
; COMPUTE_PGM_RSRC2:TGID_Z_EN: 0
; COMPUTE_PGM_RSRC2:TIDIG_COMP_CNT: 0
; COMPUTE_PGM_RSRC3_GFX90A:ACCUM_OFFSET: 12
; COMPUTE_PGM_RSRC3_GFX90A:TG_SPLIT: 0
	.section	.text._ZN9rocsolver6v33100L32stedc_mergeValues_Rescale_kernelIfEEviiPT_lS3_lS3_S3_PiS2_S2_S2_,"axG",@progbits,_ZN9rocsolver6v33100L32stedc_mergeValues_Rescale_kernelIfEEviiPT_lS3_lS3_S3_PiS2_S2_S2_,comdat
	.globl	_ZN9rocsolver6v33100L32stedc_mergeValues_Rescale_kernelIfEEviiPT_lS3_lS3_S3_PiS2_S2_S2_ ; -- Begin function _ZN9rocsolver6v33100L32stedc_mergeValues_Rescale_kernelIfEEviiPT_lS3_lS3_S3_PiS2_S2_S2_
	.p2align	8
	.type	_ZN9rocsolver6v33100L32stedc_mergeValues_Rescale_kernelIfEEviiPT_lS3_lS3_S3_PiS2_S2_S2_,@function
_ZN9rocsolver6v33100L32stedc_mergeValues_Rescale_kernelIfEEviiPT_lS3_lS3_S3_PiS2_S2_S2_: ; @_ZN9rocsolver6v33100L32stedc_mergeValues_Rescale_kernelIfEEviiPT_lS3_lS3_S3_PiS2_S2_S2_
; %bb.0:
	s_load_dword s12, s[4:5], 0x4
	s_load_dwordx2 s[2:3], s[4:5], 0x38
	s_mov_b32 s0, s7
	s_waitcnt lgkmcnt(0)
	s_mul_i32 s16, s7, s12
	s_mul_i32 s8, s16, 13
	s_ashr_i32 s9, s8, 31
	s_ashr_i32 s13, s12, 31
	s_lshl_b64 s[8:9], s[8:9], 2
	s_add_u32 s1, s2, s8
	s_mul_i32 s2, s12, 6
	s_addc_u32 s7, s3, s9
	s_ashr_i32 s3, s2, 31
	s_lshl_b64 s[2:3], s[2:3], 2
	s_add_u32 s1, s1, s2
	s_addc_u32 s11, s7, s3
	s_ashr_i32 s7, s6, 31
	s_lshl_b64 s[8:9], s[12:13], 2
	s_lshl_b64 s[2:3], s[6:7], 2
	s_add_u32 s10, s1, s2
	s_addc_u32 s11, s11, s3
	s_add_u32 s8, s10, s8
	s_addc_u32 s9, s11, s9
	s_load_dword s13, s[10:11], 0x0
	s_load_dword s17, s[8:9], 0x0
	s_waitcnt lgkmcnt(0)
	s_sub_i32 s1, s6, s13
	s_cmp_ge_i32 s1, s17
	s_cbranch_scc1 .LBB22_17
; %bb.1:
	s_load_dwordx4 s[8:11], s[4:5], 0x28
	v_cmp_le_i32_e32 vcc, s17, v0
                                        ; implicit-def: $sgpr7
                                        ; implicit-def: $sgpr1
	s_and_saveexec_b64 s[14:15], vcc
	s_xor_b64 s[14:15], exec, s[14:15]
	s_cbranch_execz .LBB22_3
; %bb.2:
	s_load_dword s1, s[4:5], 0x5c
	s_mov_b32 s7, 1.0
.LBB22_3:
	s_or_saveexec_b64 s[14:15], s[14:15]
	v_mov_b32_e32 v1, s7
	s_waitcnt lgkmcnt(0)
	v_mov_b32_e32 v3, s1
	s_xor_b64 exec, exec, s[14:15]
	s_cbranch_execz .LBB22_9
; %bb.4:
	s_load_dwordx4 s[20:23], s[4:5], 0x8
	s_load_dword s18, s[4:5], 0x5c
	s_ashr_i32 s1, s0, 31
	v_add_u32_e32 v1, s13, v0
	v_mul_lo_u32 v1, s12, v1
	s_waitcnt lgkmcnt(0)
	s_mul_i32 s4, s0, s23
	s_mul_hi_u32 s5, s0, s22
	s_mul_i32 s1, s1, s22
	s_add_i32 s4, s5, s4
	s_add_i32 s1, s4, s1
	s_mul_i32 s0, s0, s22
	s_lshl_b64 s[0:1], s[0:1], 2
	s_add_u32 s19, s20, s0
	s_mul_i32 s0, s16, s12
	s_addc_u32 s20, s21, s1
	s_lshl_b32 s0, s0, 1
	s_ashr_i32 s1, s0, 31
	s_lshl_b64 s[0:1], s[0:1], 2
	s_add_u32 s4, s10, s0
	s_addc_u32 s5, s11, s1
	s_mul_i32 s0, s12, s12
	s_mov_b32 s1, 0
	s_lshl_b64 s[0:1], s[0:1], 2
	s_add_u32 s10, s4, s0
	s_addc_u32 s7, s5, s1
	s_add_u32 s0, s19, s2
	s_addc_u32 s1, s20, s3
	s_and_b32 s11, s18, 0xffff
	v_add_u32_e32 v1, s6, v1
	s_sub_i32 s21, s13, s6
	v_subrev_u32_e32 v2, s13, v1
	s_mul_i32 s22, s12, s11
	s_mov_b64 s[4:5], 0
	v_mov_b32_e32 v1, 1.0
	v_mov_b32_e32 v4, s7
	v_mov_b32_e32 v5, v0
	s_branch .LBB22_6
.LBB22_5:                               ;   in Loop: Header=BB22_6 Depth=1
	s_or_b64 exec, exec, s[6:7]
	v_add_u32_e32 v5, s11, v5
	v_cmp_le_i32_e32 vcc, s17, v5
	s_waitcnt vmcnt(0)
	v_mul_f32_e32 v1, v1, v3
	s_or_b64 s[4:5], vcc, s[4:5]
	v_add_u32_e32 v2, s22, v2
	s_andn2_b64 exec, exec, s[4:5]
	s_cbranch_execz .LBB22_8
.LBB22_6:                               ; =>This Inner Loop Header: Depth=1
	v_ashrrev_i32_e32 v3, 31, v2
	v_lshlrev_b64 v[6:7], 2, v[2:3]
	v_add_co_u32_e32 v6, vcc, s10, v6
	v_addc_co_u32_e32 v7, vcc, v4, v7, vcc
	global_load_dword v3, v[6:7], off
	v_add_u32_e32 v6, s21, v5
	v_cmp_ne_u32_e32 vcc, 0, v6
	s_and_saveexec_b64 s[6:7], vcc
	s_cbranch_execz .LBB22_5
; %bb.7:                                ;   in Loop: Header=BB22_6 Depth=1
	v_add_u32_e32 v6, s13, v5
	v_ashrrev_i32_e32 v7, 31, v6
	v_lshlrev_b64 v[6:7], 2, v[6:7]
	v_mov_b32_e32 v8, s20
	v_add_co_u32_e32 v6, vcc, s19, v6
	v_addc_co_u32_e32 v7, vcc, v8, v7, vcc
	global_load_dword v6, v[6:7], off
	s_load_dword s23, s[0:1], 0x0
	s_waitcnt vmcnt(0) lgkmcnt(0)
	v_sub_f32_e32 v6, s23, v6
	v_div_scale_f32 v7, s[24:25], v6, v6, v3
	v_rcp_f32_e32 v8, v7
	v_div_scale_f32 v9, vcc, v3, v6, v3
	v_fma_f32 v10, -v7, v8, 1.0
	v_fmac_f32_e32 v8, v10, v8
	v_mul_f32_e32 v10, v9, v8
	v_fma_f32 v11, -v7, v10, v9
	v_fmac_f32_e32 v10, v11, v8
	v_fma_f32 v7, -v7, v10, v9
	v_div_fmas_f32 v7, v7, v8, v10
	v_div_fixup_f32 v3, v7, v6, v3
	s_branch .LBB22_5
.LBB22_8:
	s_or_b64 exec, exec, s[4:5]
	v_mov_b32_e32 v3, s18
.LBB22_9:
	s_or_b64 exec, exec, s[14:15]
	v_lshlrev_b32_e32 v2, 2, v0
	v_cmp_lt_u16_e32 vcc, 1, v3
	ds_write_b32 v2, v1
	s_waitcnt lgkmcnt(0)
	s_barrier
	s_and_saveexec_b64 s[0:1], vcc
	s_cbranch_execz .LBB22_15
; %bb.10:
	v_lshrrev_b16_e32 v3, 1, v3
	s_mov_b64 s[4:5], 0
	s_branch .LBB22_12
.LBB22_11:                              ;   in Loop: Header=BB22_12 Depth=1
	s_or_b64 exec, exec, s[6:7]
	v_lshrrev_b32_e32 v4, 1, v3
	v_cmp_gt_u32_e32 vcc, 2, v3
	s_or_b64 s[4:5], vcc, s[4:5]
	v_mov_b32_e32 v3, v4
	s_waitcnt lgkmcnt(0)
	s_barrier
	s_andn2_b64 exec, exec, s[4:5]
	s_cbranch_execz .LBB22_14
.LBB22_12:                              ; =>This Inner Loop Header: Depth=1
	v_cmp_lt_u32_e32 vcc, v0, v3
	s_and_saveexec_b64 s[6:7], vcc
	s_cbranch_execz .LBB22_11
; %bb.13:                               ;   in Loop: Header=BB22_12 Depth=1
	v_lshl_add_u32 v4, v3, 2, v2
	ds_read_b32 v4, v4
	s_waitcnt lgkmcnt(0)
	v_mul_f32_e32 v1, v1, v4
	ds_write_b32 v2, v1
	s_branch .LBB22_11
.LBB22_14:
	s_or_b64 exec, exec, s[4:5]
.LBB22_15:
	s_or_b64 exec, exec, s[0:1]
	v_cmp_eq_u32_e32 vcc, 0, v0
	s_and_saveexec_b64 s[0:1], vcc
	s_cbranch_execz .LBB22_17
; %bb.16:
	s_mov_b32 s6, 0xf800000
	s_mov_b32 s7, 0x4f800000
	s_mul_i32 s0, s16, 10
	v_mul_f32_e64 v0, |v1|, s7
	v_cmp_lt_f32_e64 vcc, |v1|, s6
	s_ashr_i32 s1, s0, 31
	v_cndmask_b32_e64 v0, |v1|, v0, vcc
	s_lshl_b64 s[0:1], s[0:1], 2
	v_sqrt_f32_e32 v1, v0
	s_add_u32 s4, s8, s0
	s_addc_u32 s5, s9, s1
	s_lshl_b32 s0, s12, 3
	s_ashr_i32 s1, s0, 31
	s_lshl_b64 s[0:1], s[0:1], 2
	v_add_u32_e32 v2, -1, v1
	s_add_u32 s4, s4, s0
	v_fma_f32 v3, -v2, v1, v0
	s_addc_u32 s5, s5, s1
	v_cmp_ge_f32_e64 s[0:1], 0, v3
	v_add_u32_e32 v3, 1, v1
	v_cndmask_b32_e64 v2, v1, v2, s[0:1]
	v_fma_f32 v1, -v3, v1, v0
	v_cmp_lt_f32_e64 s[0:1], 0, v1
	v_cndmask_b32_e64 v1, v2, v3, s[0:1]
	s_add_u32 s0, s4, s2
	s_addc_u32 s1, s5, s3
	s_load_dword s2, s[0:1], 0x0
	v_mul_f32_e32 v2, 0x37800000, v1
	v_cndmask_b32_e32 v1, v1, v2, vcc
	v_mov_b32_e32 v2, 0x260
	v_cmp_class_f32_e32 vcc, v0, v2
	v_cndmask_b32_e32 v0, v1, v0, vcc
	s_waitcnt lgkmcnt(0)
	v_cmp_lt_f32_e64 s[2:3], s2, 0
	v_mov_b32_e32 v1, 0
	v_cndmask_b32_e64 v0, v0, -v0, s[2:3]
	global_store_dword v1, v0, s[0:1]
.LBB22_17:
	s_endpgm
	.section	.rodata,"a",@progbits
	.p2align	6, 0x0
	.amdhsa_kernel _ZN9rocsolver6v33100L32stedc_mergeValues_Rescale_kernelIfEEviiPT_lS3_lS3_S3_PiS2_S2_S2_
		.amdhsa_group_segment_fixed_size 2048
		.amdhsa_private_segment_fixed_size 0
		.amdhsa_kernarg_size 336
		.amdhsa_user_sgpr_count 6
		.amdhsa_user_sgpr_private_segment_buffer 1
		.amdhsa_user_sgpr_dispatch_ptr 0
		.amdhsa_user_sgpr_queue_ptr 0
		.amdhsa_user_sgpr_kernarg_segment_ptr 1
		.amdhsa_user_sgpr_dispatch_id 0
		.amdhsa_user_sgpr_flat_scratch_init 0
		.amdhsa_user_sgpr_kernarg_preload_length 0
		.amdhsa_user_sgpr_kernarg_preload_offset 0
		.amdhsa_user_sgpr_private_segment_size 0
		.amdhsa_uses_dynamic_stack 0
		.amdhsa_system_sgpr_private_segment_wavefront_offset 0
		.amdhsa_system_sgpr_workgroup_id_x 1
		.amdhsa_system_sgpr_workgroup_id_y 1
		.amdhsa_system_sgpr_workgroup_id_z 0
		.amdhsa_system_sgpr_workgroup_info 0
		.amdhsa_system_vgpr_workitem_id 0
		.amdhsa_next_free_vgpr 12
		.amdhsa_next_free_sgpr 26
		.amdhsa_accum_offset 12
		.amdhsa_reserve_vcc 1
		.amdhsa_reserve_flat_scratch 0
		.amdhsa_float_round_mode_32 0
		.amdhsa_float_round_mode_16_64 0
		.amdhsa_float_denorm_mode_32 3
		.amdhsa_float_denorm_mode_16_64 3
		.amdhsa_dx10_clamp 1
		.amdhsa_ieee_mode 1
		.amdhsa_fp16_overflow 0
		.amdhsa_tg_split 0
		.amdhsa_exception_fp_ieee_invalid_op 0
		.amdhsa_exception_fp_denorm_src 0
		.amdhsa_exception_fp_ieee_div_zero 0
		.amdhsa_exception_fp_ieee_overflow 0
		.amdhsa_exception_fp_ieee_underflow 0
		.amdhsa_exception_fp_ieee_inexact 0
		.amdhsa_exception_int_div_zero 0
	.end_amdhsa_kernel
	.section	.text._ZN9rocsolver6v33100L32stedc_mergeValues_Rescale_kernelIfEEviiPT_lS3_lS3_S3_PiS2_S2_S2_,"axG",@progbits,_ZN9rocsolver6v33100L32stedc_mergeValues_Rescale_kernelIfEEviiPT_lS3_lS3_S3_PiS2_S2_S2_,comdat
.Lfunc_end22:
	.size	_ZN9rocsolver6v33100L32stedc_mergeValues_Rescale_kernelIfEEviiPT_lS3_lS3_S3_PiS2_S2_S2_, .Lfunc_end22-_ZN9rocsolver6v33100L32stedc_mergeValues_Rescale_kernelIfEEviiPT_lS3_lS3_S3_PiS2_S2_S2_
                                        ; -- End function
	.section	.AMDGPU.csdata,"",@progbits
; Kernel info:
; codeLenInByte = 948
; NumSgprs: 30
; NumVgprs: 12
; NumAgprs: 0
; TotalNumVgprs: 12
; ScratchSize: 0
; MemoryBound: 0
; FloatMode: 240
; IeeeMode: 1
; LDSByteSize: 2048 bytes/workgroup (compile time only)
; SGPRBlocks: 3
; VGPRBlocks: 1
; NumSGPRsForWavesPerEU: 30
; NumVGPRsForWavesPerEU: 12
; AccumOffset: 12
; Occupancy: 8
; WaveLimiterHint : 1
; COMPUTE_PGM_RSRC2:SCRATCH_EN: 0
; COMPUTE_PGM_RSRC2:USER_SGPR: 6
; COMPUTE_PGM_RSRC2:TRAP_HANDLER: 0
; COMPUTE_PGM_RSRC2:TGID_X_EN: 1
; COMPUTE_PGM_RSRC2:TGID_Y_EN: 1
; COMPUTE_PGM_RSRC2:TGID_Z_EN: 0
; COMPUTE_PGM_RSRC2:TIDIG_COMP_CNT: 0
; COMPUTE_PGM_RSRC3_GFX90A:ACCUM_OFFSET: 2
; COMPUTE_PGM_RSRC3_GFX90A:TG_SPLIT: 0
	.section	.text._ZN9rocsolver6v33100L25stedc_mergeVectors_kernelILb1EfEEviiPT0_iilS3_S3_Pi,"axG",@progbits,_ZN9rocsolver6v33100L25stedc_mergeVectors_kernelILb1EfEEviiPT0_iilS3_S3_Pi,comdat
	.globl	_ZN9rocsolver6v33100L25stedc_mergeVectors_kernelILb1EfEEviiPT0_iilS3_S3_Pi ; -- Begin function _ZN9rocsolver6v33100L25stedc_mergeVectors_kernelILb1EfEEviiPT0_iilS3_S3_Pi
	.p2align	8
	.type	_ZN9rocsolver6v33100L25stedc_mergeVectors_kernelILb1EfEEviiPT0_iilS3_S3_Pi,@function
_ZN9rocsolver6v33100L25stedc_mergeVectors_kernelILb1EfEEviiPT0_iilS3_S3_Pi: ; @_ZN9rocsolver6v33100L25stedc_mergeVectors_kernelILb1EfEEviiPT0_iilS3_S3_Pi
; %bb.0:
	s_load_dword s8, s[4:5], 0x4
	s_load_dword s12, s[4:5], 0x44
	s_load_dwordx2 s[10:11], s[4:5], 0x30
	s_load_dwordx4 s[0:3], s[4:5], 0x20
	s_waitcnt lgkmcnt(0)
	s_mul_i32 s16, s7, s8
	s_mul_i32 s4, s16, 13
	s_ashr_i32 s5, s4, 31
	s_ashr_i32 s9, s8, 31
	s_and_b32 s20, s12, 0xffff
	s_lshl_b64 s[4:5], s[4:5], 2
	s_add_u32 s7, s10, s4
	s_mul_i32 s4, s8, 5
	s_addc_u32 s10, s11, s5
	s_ashr_i32 s5, s4, 31
	s_lshl_b64 s[4:5], s[4:5], 2
	s_add_u32 s17, s7, s4
	s_mul_i32 s4, s16, s8
	s_addc_u32 s18, s10, s5
	s_lshl_b32 s4, s4, 1
	s_ashr_i32 s7, s6, 31
	s_lshl_b64 s[12:13], s[8:9], 2
	s_ashr_i32 s5, s4, 31
	s_lshl_b64 s[14:15], s[6:7], 2
	s_add_u32 s14, s17, s14
	s_addc_u32 s15, s18, s15
	s_add_u32 s18, s14, s12
	s_addc_u32 s19, s15, s13
	;; [unrolled: 2-line block ×3, first 2 shown]
	s_load_dword s9, s[12:13], 0x0
	s_load_dword s21, s[18:19], 0x0
	;; [unrolled: 1-line block ×3, first 2 shown]
	s_mul_i32 s10, s8, s8
	s_mov_b32 s11, 0
	s_waitcnt lgkmcnt(0)
	s_sub_i32 s12, s6, s21
	s_cmp_ge_i32 s12, s9
	s_cselect_b64 s[12:13], -1, 0
	s_and_b64 vcc, exec, s[12:13]
	s_barrier
	s_cbranch_vccnz .LBB23_10
; %bb.1:
	v_cmp_gt_i32_e32 vcc, s9, v0
	v_mov_b32_e32 v1, 0
	s_and_saveexec_b64 s[14:15], vcc
	s_cbranch_execz .LBB23_5
; %bb.2:
	s_mul_i32 s24, s6, s8
	v_add_u32_e32 v2, s24, v0
	v_ashrrev_i32_e32 v3, 31, v2
	s_mul_i32 s16, s16, 10
	s_lshl_b32 s18, s8, 3
	s_lshl_b64 s[22:23], s[4:5], 2
	v_lshlrev_b64 v[2:3], 2, v[2:3]
	s_ashr_i32 s17, s16, 31
	s_ashr_i32 s19, s18, 31
	v_mov_b32_e32 v1, s23
	v_add_co_u32_e32 v4, vcc, s22, v2
	s_lshl_b64 s[22:23], s[10:11], 2
	v_addc_co_u32_e32 v1, vcc, v1, v3, vcc
	s_add_u32 s22, s2, s22
	s_addc_u32 s23, s3, s23
	v_add_co_u32_e32 v2, vcc, s22, v4
	s_lshl_b32 s22, s20, 2
	s_lshl_b64 s[16:17], s[16:17], 2
	s_lshl_b64 s[18:19], s[18:19], 2
	v_mov_b32_e32 v3, s23
	s_add_u32 s16, s16, s18
	v_addc_co_u32_e32 v3, vcc, v3, v1, vcc
	s_addc_u32 s17, s17, s19
	v_add_u32_e32 v6, s21, v0
	v_mov_b32_e32 v5, s3
	v_add_co_u32_e32 v4, vcc, s2, v4
	v_ashrrev_i32_e32 v7, 31, v6
	s_add_u32 s0, s0, s16
	v_addc_co_u32_e32 v5, vcc, v5, v1, vcc
	v_lshlrev_b64 v[6:7], 2, v[6:7]
	s_addc_u32 s1, s1, s17
	v_mov_b32_e32 v1, s1
	v_add_co_u32_e32 v6, vcc, s0, v6
	v_addc_co_u32_e32 v7, vcc, v1, v7, vcc
	s_mov_b64 s[16:17], 0
	v_mov_b32_e32 v1, 0
	s_mov_b64 s[18:19], 0
	v_mov_b32_e32 v8, v0
.LBB23_3:                               ; =>This Inner Loop Header: Depth=1
	v_mov_b32_e32 v9, s19
	v_add_co_u32_e64 v12, s[0:1], s18, v6
	v_add_co_u32_e32 v10, vcc, s18, v2
	v_addc_co_u32_e64 v13, s[0:1], v7, v9, s[0:1]
	v_addc_co_u32_e32 v11, vcc, v3, v9, vcc
	global_load_dword v14, v[12:13], off
	global_load_dword v15, v[10:11], off
	v_add_co_u32_e32 v10, vcc, s18, v4
	v_addc_co_u32_e32 v11, vcc, v5, v9, vcc
	v_add_u32_e32 v8, s20, v8
	s_add_u32 s18, s18, s22
	s_addc_u32 s19, s19, 0
	v_cmp_le_i32_e32 vcc, s9, v8
	s_or_b64 s[16:17], vcc, s[16:17]
	s_waitcnt vmcnt(0)
	v_div_scale_f32 v9, s[0:1], v15, v15, v14
	v_rcp_f32_e32 v12, v9
	v_div_scale_f32 v13, vcc, v14, v15, v14
	v_fma_f32 v16, -v9, v12, 1.0
	v_fmac_f32_e32 v12, v16, v12
	v_mul_f32_e32 v16, v13, v12
	v_fma_f32 v17, -v9, v16, v13
	v_fmac_f32_e32 v16, v17, v12
	v_fma_f32 v9, -v9, v16, v13
	v_div_fmas_f32 v9, v9, v12, v16
	v_div_fixup_f32 v9, v9, v15, v14
	v_fmac_f32_e32 v1, v9, v9
	global_store_dword v[10:11], v9, off
	s_andn2_b64 exec, exec, s[16:17]
	s_cbranch_execnz .LBB23_3
; %bb.4:
	s_or_b64 exec, exec, s[16:17]
.LBB23_5:
	s_or_b64 exec, exec, s[14:15]
	v_lshlrev_b32_e32 v2, 2, v0
	s_cmp_lt_u32 s20, 2
	ds_write_b32 v2, v1
	s_cbranch_scc1 .LBB23_11
; %bb.6:
	s_mov_b32 s14, s20
	s_branch .LBB23_8
.LBB23_7:                               ;   in Loop: Header=BB23_8 Depth=1
	s_or_b64 exec, exec, s[0:1]
	s_cmp_lt_u32 s14, 4
	s_mov_b32 s14, s15
	s_cbranch_scc1 .LBB23_11
.LBB23_8:                               ; =>This Inner Loop Header: Depth=1
	s_lshr_b32 s15, s14, 1
	v_cmp_gt_u32_e32 vcc, s15, v0
	s_waitcnt lgkmcnt(0)
	s_barrier
	s_and_saveexec_b64 s[0:1], vcc
	s_cbranch_execz .LBB23_7
; %bb.9:                                ;   in Loop: Header=BB23_8 Depth=1
	v_lshl_add_u32 v3, s15, 2, v2
	ds_read_b32 v3, v3
	s_waitcnt lgkmcnt(0)
	v_add_f32_e32 v1, v1, v3
	ds_write_b32 v2, v1
	s_branch .LBB23_7
.LBB23_10:
                                        ; implicit-def: $vgpr1
	s_add_i32 s14, s7, s21
	v_cmp_gt_i32_e32 vcc, s14, v0
	s_and_saveexec_b64 s[0:1], vcc
	s_cbranch_execnz .LBB23_12
	s_branch .LBB23_18
.LBB23_11:
	v_mov_b32_e32 v1, 0
	s_waitcnt lgkmcnt(0)
	s_barrier
	ds_read_b32 v1, v1
	s_mov_b32 s0, 0xf800000
	s_waitcnt lgkmcnt(0)
	v_mul_f32_e32 v2, 0x4f800000, v1
	v_cmp_gt_f32_e32 vcc, s0, v1
	v_cndmask_b32_e32 v1, v1, v2, vcc
	v_sqrt_f32_e32 v2, v1
	v_add_u32_e32 v3, -1, v2
	v_fma_f32 v5, -v3, v2, v1
	v_add_u32_e32 v4, 1, v2
	v_cmp_ge_f32_e64 s[0:1], 0, v5
	v_cndmask_b32_e64 v3, v2, v3, s[0:1]
	v_fma_f32 v2, -v4, v2, v1
	v_cmp_lt_f32_e64 s[0:1], 0, v2
	v_cndmask_b32_e64 v2, v3, v4, s[0:1]
	v_mul_f32_e32 v3, 0x37800000, v2
	v_cndmask_b32_e32 v2, v2, v3, vcc
	v_mov_b32_e32 v3, 0x260
	v_cmp_class_f32_e32 vcc, v1, v3
	v_cndmask_b32_e32 v1, v2, v1, vcc
	s_add_i32 s14, s7, s21
	v_cmp_gt_i32_e32 vcc, s14, v0
	s_and_saveexec_b64 s[0:1], vcc
	s_cbranch_execz .LBB23_18
.LBB23_12:
	s_lshl_b64 s[0:1], s[4:5], 2
	s_add_u32 s15, s2, s0
	s_addc_u32 s16, s3, s1
	s_lshl_b64 s[0:1], s[10:11], 2
	s_add_u32 s10, s15, s0
	s_addc_u32 s4, s16, s1
	s_mul_i32 s8, s6, s8
	s_sub_i32 s11, 0, s21
	s_sub_i32 s17, s8, s21
	s_mov_b64 s[0:1], 0
	s_xor_b64 s[2:3], s[12:13], -1
	v_mov_b32_e32 v2, s4
	s_branch .LBB23_15
.LBB23_13:                              ;   in Loop: Header=BB23_15 Depth=1
	s_or_b64 exec, exec, s[6:7]
.LBB23_14:                              ;   in Loop: Header=BB23_15 Depth=1
	s_or_b64 exec, exec, s[4:5]
	v_add_u32_e32 v4, s8, v0
	v_ashrrev_i32_e32 v5, 31, v4
	v_lshlrev_b64 v[4:5], 2, v[4:5]
	v_add_co_u32_e32 v4, vcc, s10, v4
	v_addc_co_u32_e32 v5, vcc, v2, v5, vcc
	v_add_u32_e32 v0, s20, v0
	v_cmp_le_i32_e32 vcc, s14, v0
	s_or_b64 s[0:1], vcc, s[0:1]
	global_store_dword v[4:5], v3, off
	s_andn2_b64 exec, exec, s[0:1]
	s_cbranch_execz .LBB23_18
.LBB23_15:                              ; =>This Inner Loop Header: Depth=1
	v_cmp_le_i32_e32 vcc, s21, v0
	s_and_b64 s[6:7], s[2:3], vcc
	v_mov_b32_e32 v3, 0
	s_and_saveexec_b64 s[4:5], s[6:7]
	s_cbranch_execz .LBB23_14
; %bb.16:                               ;   in Loop: Header=BB23_15 Depth=1
	v_add_u32_e32 v3, s11, v0
	v_cmp_gt_i32_e32 vcc, s9, v3
	v_mov_b32_e32 v3, 0
	s_and_saveexec_b64 s[6:7], vcc
	s_cbranch_execz .LBB23_13
; %bb.17:                               ;   in Loop: Header=BB23_15 Depth=1
	v_add_u32_e32 v4, s17, v0
	v_ashrrev_i32_e32 v5, 31, v4
	v_lshlrev_b64 v[4:5], 2, v[4:5]
	v_mov_b32_e32 v3, s16
	v_add_co_u32_e32 v4, vcc, s15, v4
	v_addc_co_u32_e32 v5, vcc, v3, v5, vcc
	global_load_dword v3, v[4:5], off
	s_waitcnt vmcnt(0)
	v_div_scale_f32 v4, s[12:13], v1, v1, v3
	v_rcp_f32_e32 v5, v4
	v_div_scale_f32 v6, vcc, v3, v1, v3
	v_fma_f32 v7, -v4, v5, 1.0
	v_fmac_f32_e32 v5, v7, v5
	v_mul_f32_e32 v7, v6, v5
	v_fma_f32 v8, -v4, v7, v6
	v_fmac_f32_e32 v7, v8, v5
	v_fma_f32 v4, -v4, v7, v6
	v_div_fmas_f32 v4, v4, v5, v7
	v_div_fixup_f32 v3, v4, v1, v3
	s_branch .LBB23_13
.LBB23_18:
	s_endpgm
	.section	.rodata,"a",@progbits
	.p2align	6, 0x0
	.amdhsa_kernel _ZN9rocsolver6v33100L25stedc_mergeVectors_kernelILb1EfEEviiPT0_iilS3_S3_Pi
		.amdhsa_group_segment_fixed_size 2048
		.amdhsa_private_segment_fixed_size 0
		.amdhsa_kernarg_size 312
		.amdhsa_user_sgpr_count 6
		.amdhsa_user_sgpr_private_segment_buffer 1
		.amdhsa_user_sgpr_dispatch_ptr 0
		.amdhsa_user_sgpr_queue_ptr 0
		.amdhsa_user_sgpr_kernarg_segment_ptr 1
		.amdhsa_user_sgpr_dispatch_id 0
		.amdhsa_user_sgpr_flat_scratch_init 0
		.amdhsa_user_sgpr_kernarg_preload_length 0
		.amdhsa_user_sgpr_kernarg_preload_offset 0
		.amdhsa_user_sgpr_private_segment_size 0
		.amdhsa_uses_dynamic_stack 0
		.amdhsa_system_sgpr_private_segment_wavefront_offset 0
		.amdhsa_system_sgpr_workgroup_id_x 1
		.amdhsa_system_sgpr_workgroup_id_y 1
		.amdhsa_system_sgpr_workgroup_id_z 0
		.amdhsa_system_sgpr_workgroup_info 0
		.amdhsa_system_vgpr_workitem_id 0
		.amdhsa_next_free_vgpr 18
		.amdhsa_next_free_sgpr 25
		.amdhsa_accum_offset 20
		.amdhsa_reserve_vcc 1
		.amdhsa_reserve_flat_scratch 0
		.amdhsa_float_round_mode_32 0
		.amdhsa_float_round_mode_16_64 0
		.amdhsa_float_denorm_mode_32 3
		.amdhsa_float_denorm_mode_16_64 3
		.amdhsa_dx10_clamp 1
		.amdhsa_ieee_mode 1
		.amdhsa_fp16_overflow 0
		.amdhsa_tg_split 0
		.amdhsa_exception_fp_ieee_invalid_op 0
		.amdhsa_exception_fp_denorm_src 0
		.amdhsa_exception_fp_ieee_div_zero 0
		.amdhsa_exception_fp_ieee_overflow 0
		.amdhsa_exception_fp_ieee_underflow 0
		.amdhsa_exception_fp_ieee_inexact 0
		.amdhsa_exception_int_div_zero 0
	.end_amdhsa_kernel
	.section	.text._ZN9rocsolver6v33100L25stedc_mergeVectors_kernelILb1EfEEviiPT0_iilS3_S3_Pi,"axG",@progbits,_ZN9rocsolver6v33100L25stedc_mergeVectors_kernelILb1EfEEviiPT0_iilS3_S3_Pi,comdat
.Lfunc_end23:
	.size	_ZN9rocsolver6v33100L25stedc_mergeVectors_kernelILb1EfEEviiPT0_iilS3_S3_Pi, .Lfunc_end23-_ZN9rocsolver6v33100L25stedc_mergeVectors_kernelILb1EfEEviiPT0_iilS3_S3_Pi
                                        ; -- End function
	.section	.AMDGPU.csdata,"",@progbits
; Kernel info:
; codeLenInByte = 1100
; NumSgprs: 29
; NumVgprs: 18
; NumAgprs: 0
; TotalNumVgprs: 18
; ScratchSize: 0
; MemoryBound: 0
; FloatMode: 240
; IeeeMode: 1
; LDSByteSize: 2048 bytes/workgroup (compile time only)
; SGPRBlocks: 3
; VGPRBlocks: 2
; NumSGPRsForWavesPerEU: 29
; NumVGPRsForWavesPerEU: 18
; AccumOffset: 20
; Occupancy: 8
; WaveLimiterHint : 1
; COMPUTE_PGM_RSRC2:SCRATCH_EN: 0
; COMPUTE_PGM_RSRC2:USER_SGPR: 6
; COMPUTE_PGM_RSRC2:TRAP_HANDLER: 0
; COMPUTE_PGM_RSRC2:TGID_X_EN: 1
; COMPUTE_PGM_RSRC2:TGID_Y_EN: 1
; COMPUTE_PGM_RSRC2:TGID_Z_EN: 0
; COMPUTE_PGM_RSRC2:TIDIG_COMP_CNT: 0
; COMPUTE_PGM_RSRC3_GFX90A:ACCUM_OFFSET: 4
; COMPUTE_PGM_RSRC3_GFX90A:TG_SPLIT: 0
	.section	.text._ZN9rocsolver6v33100L24stedc_mergeUpdate_kernelIfEEviiPT_lS3_iilS3_S3_Pi,"axG",@progbits,_ZN9rocsolver6v33100L24stedc_mergeUpdate_kernelIfEEviiPT_lS3_iilS3_S3_Pi,comdat
	.globl	_ZN9rocsolver6v33100L24stedc_mergeUpdate_kernelIfEEviiPT_lS3_iilS3_S3_Pi ; -- Begin function _ZN9rocsolver6v33100L24stedc_mergeUpdate_kernelIfEEviiPT_lS3_iilS3_S3_Pi
	.p2align	8
	.type	_ZN9rocsolver6v33100L24stedc_mergeUpdate_kernelIfEEviiPT_lS3_iilS3_S3_Pi,@function
_ZN9rocsolver6v33100L24stedc_mergeUpdate_kernelIfEEviiPT_lS3_iilS3_S3_Pi: ; @_ZN9rocsolver6v33100L24stedc_mergeUpdate_kernelIfEEviiPT_lS3_iilS3_S3_Pi
; %bb.0:
	s_load_dword s2, s[4:5], 0x4
	s_load_dwordx8 s[8:15], s[4:5], 0x28
	s_mov_b32 s0, s7
	s_waitcnt lgkmcnt(0)
	s_mul_i32 s1, s7, s2
	s_mul_i32 s16, s1, 13
	s_ashr_i32 s17, s16, 31
	s_lshl_b64 s[16:17], s[16:17], 2
	s_add_u32 s3, s14, s16
	s_mul_i32 s14, s2, 7
	s_addc_u32 s7, s15, s17
	s_ashr_i32 s15, s14, 31
	s_lshl_b64 s[14:15], s[14:15], 2
	s_add_u32 s16, s3, s14
	s_addc_u32 s17, s7, s15
	s_ashr_i32 s3, s2, 31
	s_lshl_b64 s[14:15], s[2:3], 3
	s_sub_u32 s24, s16, s14
	s_subb_u32 s25, s17, s15
	s_lshl_b64 s[20:21], s[2:3], 2
	s_add_u32 s3, s24, s20
	s_addc_u32 s15, s25, s21
	s_ashr_i32 s7, s6, 31
	s_lshl_b64 s[22:23], s[6:7], 2
	s_add_u32 s14, s3, s22
	s_addc_u32 s15, s15, s23
	s_add_u32 s16, s16, s22
	s_addc_u32 s17, s17, s23
	s_load_dword s3, s[14:15], 0x0
	s_load_dword s7, s[16:17], 0x0
	s_waitcnt lgkmcnt(0)
	s_sub_i32 s14, s6, s3
	s_cmp_ge_i32 s14, s7
	s_cbranch_scc1 .LBB24_6
; %bb.1:
	s_ashr_i32 s7, s0, 31
	s_add_u32 s24, s24, s22
	s_addc_u32 s25, s25, s23
	s_load_dwordx4 s[16:19], s[4:5], 0x8
	s_load_dwordx2 s[14:15], s[4:5], 0x18
	s_load_dword s26, s[24:25], 0x0
	v_cmp_eq_u32_e32 vcc, 0, v0
	s_and_saveexec_b64 s[24:25], vcc
	s_cbranch_execz .LBB24_3
; %bb.2:
	s_waitcnt lgkmcnt(0)
	s_mul_i32 s19, s0, s19
	s_mul_hi_u32 s27, s0, s18
	s_add_i32 s19, s27, s19
	s_mul_i32 s27, s7, s18
	s_add_i32 s19, s19, s27
	s_mul_i32 s18, s0, s18
	s_lshl_b64 s[18:19], s[18:19], 2
	s_add_u32 s16, s16, s18
	s_addc_u32 s17, s17, s19
	s_add_u32 s16, s16, s22
	s_mul_i32 s18, s1, 10
	s_addc_u32 s17, s17, s23
	s_ashr_i32 s19, s18, 31
	s_lshl_b64 s[18:19], s[18:19], 2
	s_add_u32 s10, s10, s18
	s_addc_u32 s11, s11, s19
	s_add_u32 s10, s10, s20
	s_addc_u32 s11, s11, s21
	;; [unrolled: 2-line block ×3, first 2 shown]
	s_load_dword s10, s[10:11], 0x0
	v_mov_b32_e32 v1, 0
	s_waitcnt lgkmcnt(0)
	v_mov_b32_e32 v2, s10
	global_store_dword v1, v2, s[16:17]
.LBB24_3:
	s_or_b64 exec, exec, s[24:25]
	v_add_u32_e32 v0, s3, v0
	s_waitcnt lgkmcnt(0)
	s_add_i32 s3, s26, s3
	v_cmp_gt_i32_e32 vcc, s3, v0
	s_and_saveexec_b64 s[10:11], vcc
	s_cbranch_execz .LBB24_6
; %bb.4:
	s_load_dwordx2 s[10:11], s[4:5], 0x20
	s_load_dword s17, s[4:5], 0x54
	s_mul_i32 s9, s0, s9
	s_mul_hi_u32 s16, s0, s8
	s_add_i32 s9, s16, s9
	s_mul_i32 s7, s7, s8
	s_add_i32 s9, s9, s7
	s_mul_i32 s8, s0, s8
	s_waitcnt lgkmcnt(0)
	s_ashr_i32 s5, s10, 31
	s_lshl_b64 s[8:9], s[8:9], 2
	s_mov_b32 s4, s10
	s_add_u32 s0, s14, s8
	s_addc_u32 s7, s15, s9
	s_lshl_b64 s[4:5], s[4:5], 2
	s_add_u32 s4, s0, s4
	s_mul_i32 s1, s1, s2
	s_addc_u32 s8, s7, s5
	s_lshl_b32 s0, s1, 1
	s_ashr_i32 s1, s0, 31
	s_lshl_b64 s[0:1], s[0:1], 2
	s_add_u32 s5, s12, s0
	s_addc_u32 s9, s13, s1
	s_mul_i32 s2, s6, s2
	s_mul_i32 s6, s6, s11
	s_and_b32 s7, s17, 0xffff
	s_mov_b64 s[0:1], 0
	v_mov_b32_e32 v1, s9
	v_mov_b32_e32 v2, s8
.LBB24_5:                               ; =>This Inner Loop Header: Depth=1
	v_add_u32_e32 v4, s2, v0
	v_ashrrev_i32_e32 v5, 31, v4
	v_lshlrev_b64 v[4:5], 2, v[4:5]
	v_add_co_u32_e32 v4, vcc, s5, v4
	v_addc_co_u32_e32 v5, vcc, v1, v5, vcc
	global_load_dword v3, v[4:5], off
	v_add_u32_e32 v4, s6, v0
	v_add_u32_e32 v0, s7, v0
	v_ashrrev_i32_e32 v5, 31, v4
	v_cmp_le_i32_e32 vcc, s3, v0
	v_lshlrev_b64 v[4:5], 2, v[4:5]
	s_or_b64 s[0:1], vcc, s[0:1]
	v_add_co_u32_e32 v4, vcc, s4, v4
	v_addc_co_u32_e32 v5, vcc, v2, v5, vcc
	s_waitcnt vmcnt(0)
	global_store_dword v[4:5], v3, off
	s_andn2_b64 exec, exec, s[0:1]
	s_cbranch_execnz .LBB24_5
.LBB24_6:
	s_endpgm
	.section	.rodata,"a",@progbits
	.p2align	6, 0x0
	.amdhsa_kernel _ZN9rocsolver6v33100L24stedc_mergeUpdate_kernelIfEEviiPT_lS3_iilS3_S3_Pi
		.amdhsa_group_segment_fixed_size 0
		.amdhsa_private_segment_fixed_size 0
		.amdhsa_kernarg_size 328
		.amdhsa_user_sgpr_count 6
		.amdhsa_user_sgpr_private_segment_buffer 1
		.amdhsa_user_sgpr_dispatch_ptr 0
		.amdhsa_user_sgpr_queue_ptr 0
		.amdhsa_user_sgpr_kernarg_segment_ptr 1
		.amdhsa_user_sgpr_dispatch_id 0
		.amdhsa_user_sgpr_flat_scratch_init 0
		.amdhsa_user_sgpr_kernarg_preload_length 0
		.amdhsa_user_sgpr_kernarg_preload_offset 0
		.amdhsa_user_sgpr_private_segment_size 0
		.amdhsa_uses_dynamic_stack 0
		.amdhsa_system_sgpr_private_segment_wavefront_offset 0
		.amdhsa_system_sgpr_workgroup_id_x 1
		.amdhsa_system_sgpr_workgroup_id_y 1
		.amdhsa_system_sgpr_workgroup_id_z 0
		.amdhsa_system_sgpr_workgroup_info 0
		.amdhsa_system_vgpr_workitem_id 0
		.amdhsa_next_free_vgpr 6
		.amdhsa_next_free_sgpr 28
		.amdhsa_accum_offset 8
		.amdhsa_reserve_vcc 1
		.amdhsa_reserve_flat_scratch 0
		.amdhsa_float_round_mode_32 0
		.amdhsa_float_round_mode_16_64 0
		.amdhsa_float_denorm_mode_32 3
		.amdhsa_float_denorm_mode_16_64 3
		.amdhsa_dx10_clamp 1
		.amdhsa_ieee_mode 1
		.amdhsa_fp16_overflow 0
		.amdhsa_tg_split 0
		.amdhsa_exception_fp_ieee_invalid_op 0
		.amdhsa_exception_fp_denorm_src 0
		.amdhsa_exception_fp_ieee_div_zero 0
		.amdhsa_exception_fp_ieee_overflow 0
		.amdhsa_exception_fp_ieee_underflow 0
		.amdhsa_exception_fp_ieee_inexact 0
		.amdhsa_exception_int_div_zero 0
	.end_amdhsa_kernel
	.section	.text._ZN9rocsolver6v33100L24stedc_mergeUpdate_kernelIfEEviiPT_lS3_iilS3_S3_Pi,"axG",@progbits,_ZN9rocsolver6v33100L24stedc_mergeUpdate_kernelIfEEviiPT_lS3_iilS3_S3_Pi,comdat
.Lfunc_end24:
	.size	_ZN9rocsolver6v33100L24stedc_mergeUpdate_kernelIfEEviiPT_lS3_iilS3_S3_Pi, .Lfunc_end24-_ZN9rocsolver6v33100L24stedc_mergeUpdate_kernelIfEEviiPT_lS3_iilS3_S3_Pi
                                        ; -- End function
	.section	.AMDGPU.csdata,"",@progbits
; Kernel info:
; codeLenInByte = 560
; NumSgprs: 32
; NumVgprs: 6
; NumAgprs: 0
; TotalNumVgprs: 6
; ScratchSize: 0
; MemoryBound: 0
; FloatMode: 240
; IeeeMode: 1
; LDSByteSize: 0 bytes/workgroup (compile time only)
; SGPRBlocks: 3
; VGPRBlocks: 0
; NumSGPRsForWavesPerEU: 32
; NumVGPRsForWavesPerEU: 6
; AccumOffset: 8
; Occupancy: 8
; WaveLimiterHint : 0
; COMPUTE_PGM_RSRC2:SCRATCH_EN: 0
; COMPUTE_PGM_RSRC2:USER_SGPR: 6
; COMPUTE_PGM_RSRC2:TRAP_HANDLER: 0
; COMPUTE_PGM_RSRC2:TGID_X_EN: 1
; COMPUTE_PGM_RSRC2:TGID_Y_EN: 1
; COMPUTE_PGM_RSRC2:TGID_Z_EN: 0
; COMPUTE_PGM_RSRC2:TIDIG_COMP_CNT: 0
; COMPUTE_PGM_RSRC3_GFX90A:ACCUM_OFFSET: 1
; COMPUTE_PGM_RSRC3_GFX90A:TG_SPLIT: 0
	.section	.text._ZN9rocsolver6v33100L8copy_matIfPfNS0_7no_maskEEEvNS0_17copymat_directionEiiT0_iilPT_T1_13rocblas_fill_17rocblas_diagonal_,"axG",@progbits,_ZN9rocsolver6v33100L8copy_matIfPfNS0_7no_maskEEEvNS0_17copymat_directionEiiT0_iilPT_T1_13rocblas_fill_17rocblas_diagonal_,comdat
	.globl	_ZN9rocsolver6v33100L8copy_matIfPfNS0_7no_maskEEEvNS0_17copymat_directionEiiT0_iilPT_T1_13rocblas_fill_17rocblas_diagonal_ ; -- Begin function _ZN9rocsolver6v33100L8copy_matIfPfNS0_7no_maskEEEvNS0_17copymat_directionEiiT0_iilPT_T1_13rocblas_fill_17rocblas_diagonal_
	.p2align	8
	.type	_ZN9rocsolver6v33100L8copy_matIfPfNS0_7no_maskEEEvNS0_17copymat_directionEiiT0_iilPT_T1_13rocblas_fill_17rocblas_diagonal_,@function
_ZN9rocsolver6v33100L8copy_matIfPfNS0_7no_maskEEEvNS0_17copymat_directionEiiT0_iilPT_T1_13rocblas_fill_17rocblas_diagonal_: ; @_ZN9rocsolver6v33100L8copy_matIfPfNS0_7no_maskEEEvNS0_17copymat_directionEiiT0_iilPT_T1_13rocblas_fill_17rocblas_diagonal_
; %bb.0:
	s_load_dword s0, s[4:5], 0x4c
	s_load_dwordx4 s[12:15], s[4:5], 0x0
	v_bfe_u32 v1, v0, 10, 10
	v_and_b32_e32 v0, 0x3ff, v0
	s_waitcnt lgkmcnt(0)
	s_lshr_b32 s1, s0, 16
	s_and_b32 s0, s0, 0xffff
	s_mul_i32 s7, s7, s1
	s_mul_i32 s6, s6, s0
	v_add_u32_e32 v1, s7, v1
	v_add_u32_e32 v0, s6, v0
	v_cmp_gt_u32_e32 vcc, s13, v0
	v_cmp_gt_u32_e64 s[0:1], s14, v1
	s_and_b64 s[0:1], s[0:1], vcc
	s_and_saveexec_b64 s[2:3], s[0:1]
	s_cbranch_execz .LBB25_14
; %bb.1:
	s_load_dwordx2 s[2:3], s[4:5], 0x34
	s_waitcnt lgkmcnt(0)
	s_cmpk_lt_i32 s2, 0x7a
	s_cbranch_scc1 .LBB25_4
; %bb.2:
	s_cmpk_gt_i32 s2, 0x7a
	s_cbranch_scc0 .LBB25_5
; %bb.3:
	s_cmpk_lg_i32 s2, 0x7b
	s_mov_b64 s[6:7], -1
	s_cselect_b64 s[10:11], -1, 0
	s_cbranch_execz .LBB25_6
	s_branch .LBB25_7
.LBB25_4:
	s_mov_b64 s[10:11], 0
	s_mov_b64 s[6:7], 0
	s_cbranch_execnz .LBB25_8
	s_branch .LBB25_10
.LBB25_5:
	s_mov_b64 s[6:7], 0
	s_mov_b64 s[10:11], 0
.LBB25_6:
	v_cmp_gt_u32_e32 vcc, v0, v1
	v_cmp_le_u32_e64 s[0:1], v0, v1
	s_andn2_b64 s[6:7], s[6:7], exec
	s_and_b64 s[16:17], vcc, exec
	s_andn2_b64 s[10:11], s[10:11], exec
	s_and_b64 s[0:1], s[0:1], exec
	s_or_b64 s[6:7], s[6:7], s[16:17]
	s_or_b64 s[10:11], s[10:11], s[0:1]
.LBB25_7:
	s_branch .LBB25_10
.LBB25_8:
	s_cmpk_eq_i32 s2, 0x79
	s_mov_b64 s[10:11], -1
	s_cbranch_scc0 .LBB25_10
; %bb.9:
	v_cmp_gt_u32_e32 vcc, v1, v0
	v_cmp_le_u32_e64 s[0:1], v1, v0
	s_andn2_b64 s[6:7], s[6:7], exec
	s_and_b64 s[10:11], vcc, exec
	s_or_b64 s[6:7], s[6:7], s[10:11]
	s_orn2_b64 s[10:11], s[0:1], exec
.LBB25_10:
	s_and_saveexec_b64 s[0:1], s[10:11]
; %bb.11:
	s_cmpk_eq_i32 s3, 0x83
	s_cselect_b64 s[2:3], -1, 0
	v_cmp_eq_u32_e32 vcc, v0, v1
	s_and_b64 s[2:3], s[2:3], vcc
	s_andn2_b64 s[6:7], s[6:7], exec
	s_and_b64 s[2:3], s[2:3], exec
	s_or_b64 s[6:7], s[6:7], s[2:3]
; %bb.12:
	s_or_b64 exec, exec, s[0:1]
	s_and_b64 exec, exec, s[6:7]
	s_cbranch_execz .LBB25_14
; %bb.13:
	s_load_dwordx8 s[0:7], s[4:5], 0x10
	s_ashr_i32 s9, s13, 31
	s_ashr_i32 s15, s14, 31
	s_mul_i32 s9, s9, s8
	s_waitcnt lgkmcnt(0)
	s_ashr_i32 s11, s2, 31
	s_mov_b32 s10, s2
	s_mul_i32 s2, s8, s5
	s_mul_hi_u32 s5, s8, s4
	s_add_i32 s5, s5, s2
	s_mul_i32 s4, s8, s4
	s_lshl_b64 s[4:5], s[4:5], 2
	s_add_u32 s2, s0, s4
	s_addc_u32 s4, s1, s5
	s_lshl_b64 s[0:1], s[10:11], 2
	s_add_u32 s2, s2, s0
	s_mul_hi_u32 s0, s13, s8
	s_mul_i32 s5, s13, s8
	s_addc_u32 s4, s4, s1
	s_add_i32 s0, s0, s9
	s_mul_i32 s1, s5, s15
	s_mul_hi_u32 s8, s5, s14
	s_add_i32 s1, s8, s1
	s_mul_i32 s0, s0, s14
	s_add_i32 s1, s1, s0
	s_mul_i32 s0, s5, s14
	s_lshl_b64 s[0:1], s[0:1], 2
	s_add_u32 s5, s6, s0
	s_addc_u32 s6, s7, s1
	s_cmp_eq_u32 s12, 0
	s_cselect_b32 s0, s3, s13
	v_mad_u64_u32 v[2:3], s[0:1], v1, s0, v[0:1]
	v_mov_b32_e32 v3, 0
	s_cselect_b32 s7, s4, s6
	s_cselect_b32 s8, s2, s5
	v_lshlrev_b64 v[4:5], 2, v[2:3]
	v_mov_b32_e32 v2, s7
	v_add_co_u32_e32 v4, vcc, s8, v4
	v_addc_co_u32_e32 v5, vcc, v2, v5, vcc
	global_load_dword v2, v[4:5], off
	s_cselect_b32 s0, s13, s3
	v_mad_u64_u32 v[0:1], s[0:1], v1, s0, v[0:1]
	v_mov_b32_e32 v1, v3
	s_cselect_b32 s3, s6, s4
	s_cselect_b32 s2, s5, s2
	v_lshlrev_b64 v[0:1], 2, v[0:1]
	v_mov_b32_e32 v3, s3
	v_add_co_u32_e32 v0, vcc, s2, v0
	v_addc_co_u32_e32 v1, vcc, v3, v1, vcc
	s_waitcnt vmcnt(0)
	global_store_dword v[0:1], v2, off
.LBB25_14:
	s_endpgm
	.section	.rodata,"a",@progbits
	.p2align	6, 0x0
	.amdhsa_kernel _ZN9rocsolver6v33100L8copy_matIfPfNS0_7no_maskEEEvNS0_17copymat_directionEiiT0_iilPT_T1_13rocblas_fill_17rocblas_diagonal_
		.amdhsa_group_segment_fixed_size 0
		.amdhsa_private_segment_fixed_size 0
		.amdhsa_kernarg_size 320
		.amdhsa_user_sgpr_count 6
		.amdhsa_user_sgpr_private_segment_buffer 1
		.amdhsa_user_sgpr_dispatch_ptr 0
		.amdhsa_user_sgpr_queue_ptr 0
		.amdhsa_user_sgpr_kernarg_segment_ptr 1
		.amdhsa_user_sgpr_dispatch_id 0
		.amdhsa_user_sgpr_flat_scratch_init 0
		.amdhsa_user_sgpr_kernarg_preload_length 0
		.amdhsa_user_sgpr_kernarg_preload_offset 0
		.amdhsa_user_sgpr_private_segment_size 0
		.amdhsa_uses_dynamic_stack 0
		.amdhsa_system_sgpr_private_segment_wavefront_offset 0
		.amdhsa_system_sgpr_workgroup_id_x 1
		.amdhsa_system_sgpr_workgroup_id_y 1
		.amdhsa_system_sgpr_workgroup_id_z 1
		.amdhsa_system_sgpr_workgroup_info 0
		.amdhsa_system_vgpr_workitem_id 1
		.amdhsa_next_free_vgpr 6
		.amdhsa_next_free_sgpr 18
		.amdhsa_accum_offset 8
		.amdhsa_reserve_vcc 1
		.amdhsa_reserve_flat_scratch 0
		.amdhsa_float_round_mode_32 0
		.amdhsa_float_round_mode_16_64 0
		.amdhsa_float_denorm_mode_32 3
		.amdhsa_float_denorm_mode_16_64 3
		.amdhsa_dx10_clamp 1
		.amdhsa_ieee_mode 1
		.amdhsa_fp16_overflow 0
		.amdhsa_tg_split 0
		.amdhsa_exception_fp_ieee_invalid_op 0
		.amdhsa_exception_fp_denorm_src 0
		.amdhsa_exception_fp_ieee_div_zero 0
		.amdhsa_exception_fp_ieee_overflow 0
		.amdhsa_exception_fp_ieee_underflow 0
		.amdhsa_exception_fp_ieee_inexact 0
		.amdhsa_exception_int_div_zero 0
	.end_amdhsa_kernel
	.section	.text._ZN9rocsolver6v33100L8copy_matIfPfNS0_7no_maskEEEvNS0_17copymat_directionEiiT0_iilPT_T1_13rocblas_fill_17rocblas_diagonal_,"axG",@progbits,_ZN9rocsolver6v33100L8copy_matIfPfNS0_7no_maskEEEvNS0_17copymat_directionEiiT0_iilPT_T1_13rocblas_fill_17rocblas_diagonal_,comdat
.Lfunc_end25:
	.size	_ZN9rocsolver6v33100L8copy_matIfPfNS0_7no_maskEEEvNS0_17copymat_directionEiiT0_iilPT_T1_13rocblas_fill_17rocblas_diagonal_, .Lfunc_end25-_ZN9rocsolver6v33100L8copy_matIfPfNS0_7no_maskEEEvNS0_17copymat_directionEiiT0_iilPT_T1_13rocblas_fill_17rocblas_diagonal_
                                        ; -- End function
	.section	.AMDGPU.csdata,"",@progbits
; Kernel info:
; codeLenInByte = 520
; NumSgprs: 22
; NumVgprs: 6
; NumAgprs: 0
; TotalNumVgprs: 6
; ScratchSize: 0
; MemoryBound: 0
; FloatMode: 240
; IeeeMode: 1
; LDSByteSize: 0 bytes/workgroup (compile time only)
; SGPRBlocks: 2
; VGPRBlocks: 0
; NumSGPRsForWavesPerEU: 22
; NumVGPRsForWavesPerEU: 6
; AccumOffset: 8
; Occupancy: 8
; WaveLimiterHint : 0
; COMPUTE_PGM_RSRC2:SCRATCH_EN: 0
; COMPUTE_PGM_RSRC2:USER_SGPR: 6
; COMPUTE_PGM_RSRC2:TRAP_HANDLER: 0
; COMPUTE_PGM_RSRC2:TGID_X_EN: 1
; COMPUTE_PGM_RSRC2:TGID_Y_EN: 1
; COMPUTE_PGM_RSRC2:TGID_Z_EN: 1
; COMPUTE_PGM_RSRC2:TIDIG_COMP_CNT: 1
; COMPUTE_PGM_RSRC3_GFX90A:ACCUM_OFFSET: 1
; COMPUTE_PGM_RSRC3_GFX90A:TG_SPLIT: 0
	.section	.text._ZN9rocsolver6v33100L11stedc_copyDIfEEviPT_lS3_l,"axG",@progbits,_ZN9rocsolver6v33100L11stedc_copyDIfEEviPT_lS3_l,comdat
	.globl	_ZN9rocsolver6v33100L11stedc_copyDIfEEviPT_lS3_l ; -- Begin function _ZN9rocsolver6v33100L11stedc_copyDIfEEviPT_lS3_l
	.p2align	8
	.type	_ZN9rocsolver6v33100L11stedc_copyDIfEEviPT_lS3_l,@function
_ZN9rocsolver6v33100L11stedc_copyDIfEEviPT_lS3_l: ; @_ZN9rocsolver6v33100L11stedc_copyDIfEEviPT_lS3_l
; %bb.0:
	s_load_dword s0, s[4:5], 0x34
	s_load_dword s37, s[4:5], 0x0
	s_waitcnt lgkmcnt(0)
	s_and_b32 s33, s0, 0xffff
	s_lshl_b32 s36, s33, 4
	v_cvt_f32_u32_e32 v1, s36
	s_sub_i32 s2, 0, s36
	s_add_i32 s0, s37, -1
	s_ashr_i32 s1, s0, 31
	v_rcp_iflag_f32_e32 v1, v1
	s_abs_i32 s0, s0
	v_mul_f32_e32 v1, 0x4f7ffffe, v1
	v_cvt_u32_f32_e32 v1, v1
	v_readfirstlane_b32 s3, v1
	s_mul_i32 s2, s2, s3
	s_mul_hi_u32 s2, s3, s2
	s_add_i32 s3, s3, s2
	s_mul_hi_u32 s2, s0, s3
	s_mul_i32 s3, s2, s36
	s_sub_i32 s0, s0, s3
	s_add_i32 s6, s2, 1
	s_sub_i32 s3, s0, s36
	s_cmp_ge_u32 s0, s36
	s_cselect_b32 s2, s6, s2
	s_cselect_b32 s0, s3, s0
	s_add_i32 s3, s2, 1
	s_cmp_ge_u32 s0, s36
	s_cselect_b32 s0, s3, s2
	s_xor_b32 s0, s0, s1
	s_sub_i32 s0, s0, s1
	s_cmp_lt_i32 s0, 0
	s_cbranch_scc1 .LBB26_67
; %bb.1:
	s_load_dwordx8 s[8:15], s[4:5], 0x8
	s_ashr_i32 s1, s7, 31
	s_mul_i32 s44, s33, 3
	s_mul_i32 s46, s33, 5
	;; [unrolled: 1-line block ×3, first 2 shown]
	s_waitcnt lgkmcnt(0)
	s_mul_i32 s3, s7, s11
	s_mul_hi_u32 s4, s7, s10
	s_mul_i32 s5, s1, s10
	s_add_i32 s3, s4, s3
	s_mul_i32 s2, s7, s10
	s_add_i32 s3, s3, s5
	s_lshl_b64 s[2:3], s[2:3], 2
	s_add_u32 s38, s8, s2
	s_addc_u32 s39, s9, s3
	s_mul_i32 s2, s7, s15
	s_mul_hi_u32 s3, s7, s14
	s_add_i32 s2, s3, s2
	s_mul_i32 s1, s1, s14
	s_add_i32 s3, s2, s1
	s_mul_i32 s2, s7, s14
	s_lshl_b64 s[2:3], s[2:3], 2
	s_add_u32 s40, s12, s2
	s_addc_u32 s41, s13, s3
	s_add_i32 s42, s0, 1
	s_lshl_b32 s43, s33, 1
	s_lshl_b32 s45, s33, 2
	s_mul_i32 s48, s33, 7
	s_lshl_b32 s49, s33, 3
	s_mul_i32 s50, s33, 9
	s_mul_i32 s51, s33, 10
	;; [unrolled: 1-line block ×7, first 2 shown]
                                        ; implicit-def: $vgpr2_vgpr3_vgpr4_vgpr5_vgpr6_vgpr7_vgpr8_vgpr9_vgpr10_vgpr11_vgpr12_vgpr13_vgpr14_vgpr15_vgpr16_vgpr17
	s_branch .LBB26_3
.LBB26_2:                               ;   in Loop: Header=BB26_3 Depth=1
	s_or_b64 exec, exec, s[0:1]
	s_add_i32 s42, s42, -1
	s_cmp_eq_u32 s42, 0
	v_add_u32_e32 v0, s36, v0
	s_cbranch_scc1 .LBB26_67
.LBB26_3:                               ; =>This Inner Loop Header: Depth=1
	v_cmp_gt_i32_e32 vcc, s37, v0
	v_ashrrev_i32_e32 v1, 31, v0
	s_and_saveexec_b64 s[2:3], vcc
	s_cbranch_execz .LBB26_5
; %bb.4:                                ;   in Loop: Header=BB26_3 Depth=1
	v_lshlrev_b64 v[18:19], 2, v[0:1]
	s_waitcnt vmcnt(0)
	v_mov_b32_e32 v2, s39
	v_add_co_u32_e64 v18, s[0:1], s38, v18
	v_addc_co_u32_e64 v19, s[0:1], v2, v19, s[0:1]
	global_load_dword v2, v[18:19], off
.LBB26_5:                               ;   in Loop: Header=BB26_3 Depth=1
	s_or_b64 exec, exec, s[2:3]
	v_add_u32_e32 v18, s33, v0
	v_cmp_gt_i32_e64 s[0:1], s37, v18
	v_ashrrev_i32_e32 v19, 31, v18
	s_and_saveexec_b64 s[4:5], s[0:1]
	s_cbranch_execz .LBB26_7
; %bb.6:                                ;   in Loop: Header=BB26_3 Depth=1
	v_lshlrev_b64 v[20:21], 2, v[18:19]
	s_waitcnt vmcnt(0)
	v_mov_b32_e32 v3, s39
	v_add_co_u32_e64 v20, s[2:3], s38, v20
	v_addc_co_u32_e64 v21, s[2:3], v3, v21, s[2:3]
	global_load_dword v3, v[20:21], off
.LBB26_7:                               ;   in Loop: Header=BB26_3 Depth=1
	s_or_b64 exec, exec, s[4:5]
	v_add_u32_e32 v20, s43, v0
	v_add_u32_e32 v23, s33, v18
	v_cmp_gt_i32_e64 s[2:3], s37, v23
	v_ashrrev_i32_e32 v21, 31, v20
	s_and_saveexec_b64 s[6:7], s[2:3]
	s_cbranch_execz .LBB26_9
; %bb.8:                                ;   in Loop: Header=BB26_3 Depth=1
	v_lshlrev_b64 v[24:25], 2, v[20:21]
	s_waitcnt vmcnt(0)
	v_mov_b32_e32 v4, s39
	v_add_co_u32_e64 v24, s[4:5], s38, v24
	v_addc_co_u32_e64 v25, s[4:5], v4, v25, s[4:5]
	global_load_dword v4, v[24:25], off
.LBB26_9:                               ;   in Loop: Header=BB26_3 Depth=1
	s_or_b64 exec, exec, s[6:7]
	v_add_u32_e32 v22, s44, v0
	v_add_u32_e32 v25, s33, v23
	v_cmp_gt_i32_e64 s[4:5], s37, v25
	v_ashrrev_i32_e32 v23, 31, v22
	s_and_saveexec_b64 s[8:9], s[4:5]
	s_cbranch_execz .LBB26_11
; %bb.10:                               ;   in Loop: Header=BB26_3 Depth=1
	v_lshlrev_b64 v[26:27], 2, v[22:23]
	s_waitcnt vmcnt(0)
	v_mov_b32_e32 v5, s39
	v_add_co_u32_e64 v26, s[6:7], s38, v26
	v_addc_co_u32_e64 v27, s[6:7], v5, v27, s[6:7]
	global_load_dword v5, v[26:27], off
.LBB26_11:                              ;   in Loop: Header=BB26_3 Depth=1
	s_or_b64 exec, exec, s[8:9]
	v_add_u32_e32 v24, s45, v0
	v_add_u32_e32 v27, s33, v25
	v_cmp_gt_i32_e64 s[6:7], s37, v27
	v_ashrrev_i32_e32 v25, 31, v24
	s_and_saveexec_b64 s[10:11], s[6:7]
	s_cbranch_execz .LBB26_13
; %bb.12:                               ;   in Loop: Header=BB26_3 Depth=1
	v_lshlrev_b64 v[28:29], 2, v[24:25]
	s_waitcnt vmcnt(0)
	v_mov_b32_e32 v6, s39
	v_add_co_u32_e64 v28, s[8:9], s38, v28
	v_addc_co_u32_e64 v29, s[8:9], v6, v29, s[8:9]
	global_load_dword v6, v[28:29], off
.LBB26_13:                              ;   in Loop: Header=BB26_3 Depth=1
	;; [unrolled: 15-line block ×12, first 2 shown]
	s_or_b64 exec, exec, s[30:31]
	v_add_u32_e32 v46, s56, v0
	v_add_u32_e32 v47, s33, v47
	v_cmp_gt_i32_e64 s[28:29], s37, v47
	v_ashrrev_i32_e32 v47, 31, v46
	s_and_saveexec_b64 s[34:35], s[28:29]
	s_cbranch_execnz .LBB26_50
; %bb.34:                               ;   in Loop: Header=BB26_3 Depth=1
	s_or_b64 exec, exec, s[34:35]
	s_and_saveexec_b64 s[30:31], vcc
	s_cbranch_execnz .LBB26_51
.LBB26_35:                              ;   in Loop: Header=BB26_3 Depth=1
	s_or_b64 exec, exec, s[30:31]
	s_and_saveexec_b64 s[30:31], s[0:1]
	s_cbranch_execnz .LBB26_52
.LBB26_36:                              ;   in Loop: Header=BB26_3 Depth=1
	s_or_b64 exec, exec, s[30:31]
	s_and_saveexec_b64 s[0:1], s[2:3]
	s_cbranch_execnz .LBB26_53
.LBB26_37:                              ;   in Loop: Header=BB26_3 Depth=1
	s_or_b64 exec, exec, s[0:1]
	s_and_saveexec_b64 s[0:1], s[4:5]
	s_cbranch_execnz .LBB26_54
.LBB26_38:                              ;   in Loop: Header=BB26_3 Depth=1
	s_or_b64 exec, exec, s[0:1]
	s_and_saveexec_b64 s[0:1], s[6:7]
	s_cbranch_execnz .LBB26_55
.LBB26_39:                              ;   in Loop: Header=BB26_3 Depth=1
	s_or_b64 exec, exec, s[0:1]
	s_and_saveexec_b64 s[0:1], s[8:9]
	s_cbranch_execnz .LBB26_56
.LBB26_40:                              ;   in Loop: Header=BB26_3 Depth=1
	s_or_b64 exec, exec, s[0:1]
	s_and_saveexec_b64 s[0:1], s[10:11]
	s_cbranch_execnz .LBB26_57
.LBB26_41:                              ;   in Loop: Header=BB26_3 Depth=1
	s_or_b64 exec, exec, s[0:1]
	s_and_saveexec_b64 s[0:1], s[12:13]
	s_cbranch_execnz .LBB26_58
.LBB26_42:                              ;   in Loop: Header=BB26_3 Depth=1
	s_or_b64 exec, exec, s[0:1]
	s_and_saveexec_b64 s[0:1], s[14:15]
	s_cbranch_execnz .LBB26_59
.LBB26_43:                              ;   in Loop: Header=BB26_3 Depth=1
	s_or_b64 exec, exec, s[0:1]
	s_and_saveexec_b64 s[0:1], s[16:17]
	s_cbranch_execnz .LBB26_60
.LBB26_44:                              ;   in Loop: Header=BB26_3 Depth=1
	s_or_b64 exec, exec, s[0:1]
	s_and_saveexec_b64 s[0:1], s[18:19]
	s_cbranch_execnz .LBB26_61
.LBB26_45:                              ;   in Loop: Header=BB26_3 Depth=1
	s_or_b64 exec, exec, s[0:1]
	s_and_saveexec_b64 s[0:1], s[20:21]
	s_cbranch_execnz .LBB26_62
.LBB26_46:                              ;   in Loop: Header=BB26_3 Depth=1
	s_or_b64 exec, exec, s[0:1]
	s_and_saveexec_b64 s[0:1], s[22:23]
	s_cbranch_execnz .LBB26_63
.LBB26_47:                              ;   in Loop: Header=BB26_3 Depth=1
	s_or_b64 exec, exec, s[0:1]
	s_and_saveexec_b64 s[0:1], s[24:25]
	s_cbranch_execnz .LBB26_64
.LBB26_48:                              ;   in Loop: Header=BB26_3 Depth=1
	s_or_b64 exec, exec, s[0:1]
	s_and_saveexec_b64 s[0:1], s[26:27]
	s_cbranch_execnz .LBB26_65
.LBB26_49:                              ;   in Loop: Header=BB26_3 Depth=1
	s_or_b64 exec, exec, s[0:1]
	s_and_saveexec_b64 s[0:1], s[28:29]
	s_cbranch_execz .LBB26_2
	s_branch .LBB26_66
.LBB26_50:                              ;   in Loop: Header=BB26_3 Depth=1
	v_lshlrev_b64 v[48:49], 2, v[46:47]
	s_waitcnt vmcnt(0)
	v_mov_b32_e32 v17, s39
	v_add_co_u32_e64 v48, s[30:31], s38, v48
	v_addc_co_u32_e64 v49, s[30:31], v17, v49, s[30:31]
	global_load_dword v17, v[48:49], off
	s_or_b64 exec, exec, s[34:35]
	s_and_saveexec_b64 s[30:31], vcc
	s_cbranch_execz .LBB26_35
.LBB26_51:                              ;   in Loop: Header=BB26_3 Depth=1
	v_lshlrev_b64 v[48:49], 2, v[0:1]
	v_mov_b32_e32 v1, s41
	v_add_co_u32_e32 v48, vcc, s40, v48
	v_addc_co_u32_e32 v49, vcc, v1, v49, vcc
	s_waitcnt vmcnt(0)
	global_store_dword v[48:49], v2, off
	s_or_b64 exec, exec, s[30:31]
	s_and_saveexec_b64 s[30:31], s[0:1]
	s_cbranch_execz .LBB26_36
.LBB26_52:                              ;   in Loop: Header=BB26_3 Depth=1
	v_lshlrev_b64 v[18:19], 2, v[18:19]
	v_mov_b32_e32 v1, s41
	v_add_co_u32_e32 v18, vcc, s40, v18
	v_addc_co_u32_e32 v19, vcc, v1, v19, vcc
	s_waitcnt vmcnt(0)
	global_store_dword v[18:19], v3, off
	s_or_b64 exec, exec, s[30:31]
	s_and_saveexec_b64 s[0:1], s[2:3]
	s_cbranch_execz .LBB26_37
.LBB26_53:                              ;   in Loop: Header=BB26_3 Depth=1
	v_lshlrev_b64 v[18:19], 2, v[20:21]
	v_mov_b32_e32 v1, s41
	v_add_co_u32_e32 v18, vcc, s40, v18
	v_addc_co_u32_e32 v19, vcc, v1, v19, vcc
	s_waitcnt vmcnt(0)
	global_store_dword v[18:19], v4, off
	s_or_b64 exec, exec, s[0:1]
	s_and_saveexec_b64 s[0:1], s[4:5]
	s_cbranch_execz .LBB26_38
.LBB26_54:                              ;   in Loop: Header=BB26_3 Depth=1
	v_lshlrev_b64 v[18:19], 2, v[22:23]
	v_mov_b32_e32 v1, s41
	v_add_co_u32_e32 v18, vcc, s40, v18
	v_addc_co_u32_e32 v19, vcc, v1, v19, vcc
	s_waitcnt vmcnt(0)
	global_store_dword v[18:19], v5, off
	s_or_b64 exec, exec, s[0:1]
	s_and_saveexec_b64 s[0:1], s[6:7]
	s_cbranch_execz .LBB26_39
.LBB26_55:                              ;   in Loop: Header=BB26_3 Depth=1
	v_lshlrev_b64 v[18:19], 2, v[24:25]
	v_mov_b32_e32 v1, s41
	v_add_co_u32_e32 v18, vcc, s40, v18
	v_addc_co_u32_e32 v19, vcc, v1, v19, vcc
	s_waitcnt vmcnt(0)
	global_store_dword v[18:19], v6, off
	s_or_b64 exec, exec, s[0:1]
	s_and_saveexec_b64 s[0:1], s[8:9]
	s_cbranch_execz .LBB26_40
.LBB26_56:                              ;   in Loop: Header=BB26_3 Depth=1
	v_lshlrev_b64 v[18:19], 2, v[26:27]
	v_mov_b32_e32 v1, s41
	v_add_co_u32_e32 v18, vcc, s40, v18
	v_addc_co_u32_e32 v19, vcc, v1, v19, vcc
	s_waitcnt vmcnt(0)
	global_store_dword v[18:19], v7, off
	s_or_b64 exec, exec, s[0:1]
	s_and_saveexec_b64 s[0:1], s[10:11]
	s_cbranch_execz .LBB26_41
.LBB26_57:                              ;   in Loop: Header=BB26_3 Depth=1
	v_lshlrev_b64 v[18:19], 2, v[28:29]
	v_mov_b32_e32 v1, s41
	v_add_co_u32_e32 v18, vcc, s40, v18
	v_addc_co_u32_e32 v19, vcc, v1, v19, vcc
	s_waitcnt vmcnt(0)
	global_store_dword v[18:19], v8, off
	s_or_b64 exec, exec, s[0:1]
	s_and_saveexec_b64 s[0:1], s[12:13]
	s_cbranch_execz .LBB26_42
.LBB26_58:                              ;   in Loop: Header=BB26_3 Depth=1
	v_lshlrev_b64 v[18:19], 2, v[30:31]
	v_mov_b32_e32 v1, s41
	v_add_co_u32_e32 v18, vcc, s40, v18
	v_addc_co_u32_e32 v19, vcc, v1, v19, vcc
	s_waitcnt vmcnt(0)
	global_store_dword v[18:19], v9, off
	s_or_b64 exec, exec, s[0:1]
	s_and_saveexec_b64 s[0:1], s[14:15]
	s_cbranch_execz .LBB26_43
.LBB26_59:                              ;   in Loop: Header=BB26_3 Depth=1
	v_lshlrev_b64 v[18:19], 2, v[32:33]
	v_mov_b32_e32 v1, s41
	v_add_co_u32_e32 v18, vcc, s40, v18
	v_addc_co_u32_e32 v19, vcc, v1, v19, vcc
	s_waitcnt vmcnt(0)
	global_store_dword v[18:19], v10, off
	s_or_b64 exec, exec, s[0:1]
	s_and_saveexec_b64 s[0:1], s[16:17]
	s_cbranch_execz .LBB26_44
.LBB26_60:                              ;   in Loop: Header=BB26_3 Depth=1
	v_lshlrev_b64 v[18:19], 2, v[34:35]
	v_mov_b32_e32 v1, s41
	v_add_co_u32_e32 v18, vcc, s40, v18
	v_addc_co_u32_e32 v19, vcc, v1, v19, vcc
	s_waitcnt vmcnt(0)
	global_store_dword v[18:19], v11, off
	s_or_b64 exec, exec, s[0:1]
	s_and_saveexec_b64 s[0:1], s[18:19]
	s_cbranch_execz .LBB26_45
.LBB26_61:                              ;   in Loop: Header=BB26_3 Depth=1
	v_lshlrev_b64 v[18:19], 2, v[36:37]
	v_mov_b32_e32 v1, s41
	v_add_co_u32_e32 v18, vcc, s40, v18
	v_addc_co_u32_e32 v19, vcc, v1, v19, vcc
	s_waitcnt vmcnt(0)
	global_store_dword v[18:19], v12, off
	s_or_b64 exec, exec, s[0:1]
	s_and_saveexec_b64 s[0:1], s[20:21]
	s_cbranch_execz .LBB26_46
.LBB26_62:                              ;   in Loop: Header=BB26_3 Depth=1
	v_lshlrev_b64 v[18:19], 2, v[38:39]
	v_mov_b32_e32 v1, s41
	v_add_co_u32_e32 v18, vcc, s40, v18
	v_addc_co_u32_e32 v19, vcc, v1, v19, vcc
	s_waitcnt vmcnt(0)
	global_store_dword v[18:19], v13, off
	s_or_b64 exec, exec, s[0:1]
	s_and_saveexec_b64 s[0:1], s[22:23]
	s_cbranch_execz .LBB26_47
.LBB26_63:                              ;   in Loop: Header=BB26_3 Depth=1
	v_lshlrev_b64 v[18:19], 2, v[40:41]
	v_mov_b32_e32 v1, s41
	v_add_co_u32_e32 v18, vcc, s40, v18
	v_addc_co_u32_e32 v19, vcc, v1, v19, vcc
	s_waitcnt vmcnt(0)
	global_store_dword v[18:19], v14, off
	s_or_b64 exec, exec, s[0:1]
	s_and_saveexec_b64 s[0:1], s[24:25]
	s_cbranch_execz .LBB26_48
.LBB26_64:                              ;   in Loop: Header=BB26_3 Depth=1
	v_lshlrev_b64 v[18:19], 2, v[42:43]
	v_mov_b32_e32 v1, s41
	v_add_co_u32_e32 v18, vcc, s40, v18
	v_addc_co_u32_e32 v19, vcc, v1, v19, vcc
	s_waitcnt vmcnt(0)
	global_store_dword v[18:19], v15, off
	s_or_b64 exec, exec, s[0:1]
	s_and_saveexec_b64 s[0:1], s[26:27]
	s_cbranch_execz .LBB26_49
.LBB26_65:                              ;   in Loop: Header=BB26_3 Depth=1
	v_lshlrev_b64 v[18:19], 2, v[44:45]
	v_mov_b32_e32 v1, s41
	v_add_co_u32_e32 v18, vcc, s40, v18
	v_addc_co_u32_e32 v19, vcc, v1, v19, vcc
	s_waitcnt vmcnt(0)
	global_store_dword v[18:19], v16, off
	s_or_b64 exec, exec, s[0:1]
	s_and_saveexec_b64 s[0:1], s[28:29]
	s_cbranch_execz .LBB26_2
.LBB26_66:                              ;   in Loop: Header=BB26_3 Depth=1
	v_lshlrev_b64 v[18:19], 2, v[46:47]
	v_mov_b32_e32 v1, s41
	v_add_co_u32_e32 v18, vcc, s40, v18
	v_addc_co_u32_e32 v19, vcc, v1, v19, vcc
	s_waitcnt vmcnt(0)
	global_store_dword v[18:19], v17, off
	s_branch .LBB26_2
.LBB26_67:
	s_endpgm
	.section	.rodata,"a",@progbits
	.p2align	6, 0x0
	.amdhsa_kernel _ZN9rocsolver6v33100L11stedc_copyDIfEEviPT_lS3_l
		.amdhsa_group_segment_fixed_size 0
		.amdhsa_private_segment_fixed_size 0
		.amdhsa_kernarg_size 296
		.amdhsa_user_sgpr_count 6
		.amdhsa_user_sgpr_private_segment_buffer 1
		.amdhsa_user_sgpr_dispatch_ptr 0
		.amdhsa_user_sgpr_queue_ptr 0
		.amdhsa_user_sgpr_kernarg_segment_ptr 1
		.amdhsa_user_sgpr_dispatch_id 0
		.amdhsa_user_sgpr_flat_scratch_init 0
		.amdhsa_user_sgpr_kernarg_preload_length 0
		.amdhsa_user_sgpr_kernarg_preload_offset 0
		.amdhsa_user_sgpr_private_segment_size 0
		.amdhsa_uses_dynamic_stack 0
		.amdhsa_system_sgpr_private_segment_wavefront_offset 0
		.amdhsa_system_sgpr_workgroup_id_x 1
		.amdhsa_system_sgpr_workgroup_id_y 1
		.amdhsa_system_sgpr_workgroup_id_z 0
		.amdhsa_system_sgpr_workgroup_info 0
		.amdhsa_system_vgpr_workitem_id 0
		.amdhsa_next_free_vgpr 50
		.amdhsa_next_free_sgpr 57
		.amdhsa_accum_offset 52
		.amdhsa_reserve_vcc 1
		.amdhsa_reserve_flat_scratch 0
		.amdhsa_float_round_mode_32 0
		.amdhsa_float_round_mode_16_64 0
		.amdhsa_float_denorm_mode_32 3
		.amdhsa_float_denorm_mode_16_64 3
		.amdhsa_dx10_clamp 1
		.amdhsa_ieee_mode 1
		.amdhsa_fp16_overflow 0
		.amdhsa_tg_split 0
		.amdhsa_exception_fp_ieee_invalid_op 0
		.amdhsa_exception_fp_denorm_src 0
		.amdhsa_exception_fp_ieee_div_zero 0
		.amdhsa_exception_fp_ieee_overflow 0
		.amdhsa_exception_fp_ieee_underflow 0
		.amdhsa_exception_fp_ieee_inexact 0
		.amdhsa_exception_int_div_zero 0
	.end_amdhsa_kernel
	.section	.text._ZN9rocsolver6v33100L11stedc_copyDIfEEviPT_lS3_l,"axG",@progbits,_ZN9rocsolver6v33100L11stedc_copyDIfEEviPT_lS3_l,comdat
.Lfunc_end26:
	.size	_ZN9rocsolver6v33100L11stedc_copyDIfEEviPT_lS3_l, .Lfunc_end26-_ZN9rocsolver6v33100L11stedc_copyDIfEEviPT_lS3_l
                                        ; -- End function
	.section	.AMDGPU.csdata,"",@progbits
; Kernel info:
; codeLenInByte = 2356
; NumSgprs: 61
; NumVgprs: 50
; NumAgprs: 0
; TotalNumVgprs: 50
; ScratchSize: 0
; MemoryBound: 0
; FloatMode: 240
; IeeeMode: 1
; LDSByteSize: 0 bytes/workgroup (compile time only)
; SGPRBlocks: 7
; VGPRBlocks: 6
; NumSGPRsForWavesPerEU: 61
; NumVGPRsForWavesPerEU: 50
; AccumOffset: 52
; Occupancy: 8
; WaveLimiterHint : 0
; COMPUTE_PGM_RSRC2:SCRATCH_EN: 0
; COMPUTE_PGM_RSRC2:USER_SGPR: 6
; COMPUTE_PGM_RSRC2:TRAP_HANDLER: 0
; COMPUTE_PGM_RSRC2:TGID_X_EN: 1
; COMPUTE_PGM_RSRC2:TGID_Y_EN: 1
; COMPUTE_PGM_RSRC2:TGID_Z_EN: 0
; COMPUTE_PGM_RSRC2:TIDIG_COMP_CNT: 0
; COMPUTE_PGM_RSRC3_GFX90A:ACCUM_OFFSET: 12
; COMPUTE_PGM_RSRC3_GFX90A:TG_SPLIT: 0
	.section	.text._ZN9rocsolver6v33100L10stedc_sortIffPfS2_EEviPT0_lS4_lT1_iilT2_iil,"axG",@progbits,_ZN9rocsolver6v33100L10stedc_sortIffPfS2_EEviPT0_lS4_lT1_iilT2_iil,comdat
	.globl	_ZN9rocsolver6v33100L10stedc_sortIffPfS2_EEviPT0_lS4_lT1_iilT2_iil ; -- Begin function _ZN9rocsolver6v33100L10stedc_sortIffPfS2_EEviPT0_lS4_lT1_iilT2_iil
	.p2align	8
	.type	_ZN9rocsolver6v33100L10stedc_sortIffPfS2_EEviPT0_lS4_lT1_iilT2_iil,@function
_ZN9rocsolver6v33100L10stedc_sortIffPfS2_EEviPT0_lS4_lT1_iilT2_iil: ; @_ZN9rocsolver6v33100L10stedc_sortIffPfS2_EEviPT0_lS4_lT1_iilT2_iil
; %bb.0:
	s_load_dwordx8 s[36:43], s[4:5], 0x8
	s_ashr_i32 s64, s7, 31
	s_load_dword s2, s[4:5], 0x64
	s_mov_b32 s33, s7
	s_load_dword s52, s[4:5], 0x0
	s_waitcnt lgkmcnt(0)
	s_mul_i32 s0, s7, s39
	s_mul_hi_u32 s1, s7, s38
	s_add_i32 s0, s1, s0
	s_mul_i32 s1, s64, s38
	s_add_i32 s1, s0, s1
	s_mul_i32 s0, s7, s38
	s_lshl_b64 s[0:1], s[0:1], 2
	s_add_u32 s66, s36, s0
	s_addc_u32 s67, s37, s1
	s_ashr_i32 s7, s6, 31
	s_lshl_b64 s[44:45], s[6:7], 2
	s_add_u32 s0, s66, s44
	s_addc_u32 s1, s67, s45
	s_and_b32 s50, s2, 0xffff
	s_lshl_b32 s51, s50, 4
	v_cvt_f32_u32_e32 v1, s51
	s_sub_i32 s2, 0, s51
	s_load_dwordx2 s[38:39], s[4:5], 0x28
	s_load_dword s65, s[0:1], 0x0
	s_add_i32 s0, s52, -1
	v_rcp_iflag_f32_e32 v1, v1
	s_ashr_i32 s1, s0, 31
	s_abs_i32 s0, s0
	v_mov_b32_e32 v18, 0
	v_mul_f32_e32 v1, 0x4f7ffffe, v1
	v_cvt_u32_f32_e32 v1, v1
	s_mul_i32 s53, s50, 3
	s_mul_i32 s54, s50, 5
	;; [unrolled: 1-line block ×3, first 2 shown]
	v_readfirstlane_b32 s3, v1
	s_mul_i32 s2, s2, s3
	s_mul_hi_u32 s2, s3, s2
	s_add_i32 s3, s3, s2
	s_mul_hi_u32 s2, s0, s3
	s_mul_i32 s3, s2, s51
	s_sub_i32 s0, s0, s3
	s_add_i32 s3, s2, 1
	s_sub_i32 s7, s0, s51
	s_cmp_ge_u32 s0, s51
	s_cselect_b32 s2, s3, s2
	s_cselect_b32 s0, s7, s0
	s_add_i32 s3, s2, 1
	s_cmp_ge_u32 s0, s51
	s_cselect_b32 s0, s3, s2
	s_xor_b32 s0, s0, s1
	s_sub_i32 s7, s0, s1
	s_cmp_gt_i32 s7, -1
	s_cselect_b64 s[46:47], -1, 0
	s_cmp_lt_i32 s7, 0
	s_mul_i32 s56, s50, 7
	s_mul_i32 s57, s50, 9
	;; [unrolled: 1-line block ×8, first 2 shown]
	s_cbranch_scc1 .LBB27_67
; %bb.1:
	s_add_i32 s68, s7, 1
	s_lshl_b32 s69, s50, 1
	s_lshl_b32 s70, s50, 2
	;; [unrolled: 1-line block ×3, first 2 shown]
	v_mov_b32_e32 v1, 0
	v_mov_b32_e32 v18, v0
	;; [unrolled: 1-line block ×4, first 2 shown]
                                        ; implicit-def: $vgpr2_vgpr3_vgpr4_vgpr5_vgpr6_vgpr7_vgpr8_vgpr9_vgpr10_vgpr11_vgpr12_vgpr13_vgpr14_vgpr15_vgpr16_vgpr17
	s_branch .LBB27_3
.LBB27_2:                               ;   in Loop: Header=BB27_3 Depth=1
	s_or_b64 exec, exec, s[2:3]
	s_add_i32 s68, s68, -1
	s_cmp_eq_u32 s68, 0
	v_add_u32_e32 v18, s51, v18
	s_cbranch_scc1 .LBB27_68
.LBB27_3:                               ; =>This Inner Loop Header: Depth=1
	v_cmp_gt_i32_e32 vcc, s52, v18
	s_and_saveexec_b64 s[2:3], vcc
	s_cbranch_execz .LBB27_5
; %bb.4:                                ;   in Loop: Header=BB27_3 Depth=1
	v_ashrrev_i32_e32 v19, 31, v18
	v_lshlrev_b64 v[20:21], 2, v[18:19]
	s_waitcnt vmcnt(0)
	v_mov_b32_e32 v2, s67
	v_add_co_u32_e64 v20, s[0:1], s66, v20
	v_addc_co_u32_e64 v21, s[0:1], v2, v21, s[0:1]
	global_load_dword v2, v[20:21], off
.LBB27_5:                               ;   in Loop: Header=BB27_3 Depth=1
	s_or_b64 exec, exec, s[2:3]
	v_add_u32_e32 v20, s50, v18
	v_cmp_gt_i32_e64 s[0:1], s52, v20
	s_and_saveexec_b64 s[8:9], s[0:1]
	s_cbranch_execz .LBB27_7
; %bb.6:                                ;   in Loop: Header=BB27_3 Depth=1
	v_ashrrev_i32_e32 v21, 31, v20
	v_lshlrev_b64 v[22:23], 2, v[20:21]
	s_waitcnt vmcnt(0)
	v_mov_b32_e32 v3, s67
	v_add_co_u32_e64 v22, s[2:3], s66, v22
	v_addc_co_u32_e64 v23, s[2:3], v3, v23, s[2:3]
	global_load_dword v3, v[22:23], off
.LBB27_7:                               ;   in Loop: Header=BB27_3 Depth=1
	s_or_b64 exec, exec, s[8:9]
	v_add_u32_e32 v22, s69, v18
	v_cmp_gt_i32_e64 s[2:3], s52, v22
	s_and_saveexec_b64 s[10:11], s[2:3]
	;; [unrolled: 14-line block ×3, first 2 shown]
	s_cbranch_execz .LBB27_11
; %bb.10:                               ;   in Loop: Header=BB27_3 Depth=1
	v_ashrrev_i32_e32 v25, 31, v24
	v_lshlrev_b64 v[26:27], 2, v[24:25]
	s_waitcnt vmcnt(0)
	v_mov_b32_e32 v5, s67
	v_add_co_u32_e64 v26, s[10:11], s66, v26
	v_addc_co_u32_e64 v27, s[10:11], v5, v27, s[10:11]
	global_load_dword v5, v[26:27], off
.LBB27_11:                              ;   in Loop: Header=BB27_3 Depth=1
	s_or_b64 exec, exec, s[12:13]
	v_add_u32_e32 v26, s70, v18
	v_cmp_gt_i32_e64 s[10:11], s52, v26
	s_and_saveexec_b64 s[14:15], s[10:11]
	s_cbranch_execz .LBB27_13
; %bb.12:                               ;   in Loop: Header=BB27_3 Depth=1
	v_ashrrev_i32_e32 v27, 31, v26
	v_lshlrev_b64 v[28:29], 2, v[26:27]
	s_waitcnt vmcnt(0)
	v_mov_b32_e32 v6, s67
	v_add_co_u32_e64 v28, s[12:13], s66, v28
	v_addc_co_u32_e64 v29, s[12:13], v6, v29, s[12:13]
	global_load_dword v6, v[28:29], off
.LBB27_13:                              ;   in Loop: Header=BB27_3 Depth=1
	s_or_b64 exec, exec, s[14:15]
	v_add_u32_e32 v28, s54, v18
	v_cmp_gt_i32_e64 s[12:13], s52, v28
	s_and_saveexec_b64 s[16:17], s[12:13]
	;; [unrolled: 14-line block ×12, first 2 shown]
	s_cbranch_execnz .LBB27_50
; %bb.34:                               ;   in Loop: Header=BB27_3 Depth=1
	s_or_b64 exec, exec, s[48:49]
	s_and_saveexec_b64 s[48:49], vcc
	s_cbranch_execnz .LBB27_51
.LBB27_35:                              ;   in Loop: Header=BB27_3 Depth=1
	s_or_b64 exec, exec, s[48:49]
	s_and_saveexec_b64 s[36:37], s[0:1]
	s_cbranch_execnz .LBB27_52
.LBB27_36:                              ;   in Loop: Header=BB27_3 Depth=1
	s_or_b64 exec, exec, s[36:37]
	s_and_saveexec_b64 s[36:37], s[2:3]
	s_cbranch_execnz .LBB27_53
.LBB27_37:                              ;   in Loop: Header=BB27_3 Depth=1
	s_or_b64 exec, exec, s[36:37]
	s_and_saveexec_b64 s[2:3], s[8:9]
	s_cbranch_execnz .LBB27_54
.LBB27_38:                              ;   in Loop: Header=BB27_3 Depth=1
	s_or_b64 exec, exec, s[2:3]
	s_and_saveexec_b64 s[2:3], s[10:11]
	s_cbranch_execnz .LBB27_55
.LBB27_39:                              ;   in Loop: Header=BB27_3 Depth=1
	s_or_b64 exec, exec, s[2:3]
	s_and_saveexec_b64 s[2:3], s[12:13]
	s_cbranch_execnz .LBB27_56
.LBB27_40:                              ;   in Loop: Header=BB27_3 Depth=1
	s_or_b64 exec, exec, s[2:3]
	s_and_saveexec_b64 s[2:3], s[14:15]
	s_cbranch_execnz .LBB27_57
.LBB27_41:                              ;   in Loop: Header=BB27_3 Depth=1
	s_or_b64 exec, exec, s[2:3]
	s_and_saveexec_b64 s[2:3], s[16:17]
	s_cbranch_execnz .LBB27_58
.LBB27_42:                              ;   in Loop: Header=BB27_3 Depth=1
	s_or_b64 exec, exec, s[2:3]
	s_and_saveexec_b64 s[2:3], s[18:19]
	s_cbranch_execnz .LBB27_59
.LBB27_43:                              ;   in Loop: Header=BB27_3 Depth=1
	s_or_b64 exec, exec, s[2:3]
	s_and_saveexec_b64 s[2:3], s[20:21]
	s_cbranch_execnz .LBB27_60
.LBB27_44:                              ;   in Loop: Header=BB27_3 Depth=1
	s_or_b64 exec, exec, s[2:3]
	s_and_saveexec_b64 s[2:3], s[22:23]
	s_cbranch_execnz .LBB27_61
.LBB27_45:                              ;   in Loop: Header=BB27_3 Depth=1
	s_or_b64 exec, exec, s[2:3]
	s_and_saveexec_b64 s[2:3], s[24:25]
	s_cbranch_execnz .LBB27_62
.LBB27_46:                              ;   in Loop: Header=BB27_3 Depth=1
	s_or_b64 exec, exec, s[2:3]
	s_and_saveexec_b64 s[2:3], s[26:27]
	s_cbranch_execnz .LBB27_63
.LBB27_47:                              ;   in Loop: Header=BB27_3 Depth=1
	s_or_b64 exec, exec, s[2:3]
	s_and_saveexec_b64 s[2:3], s[28:29]
	s_cbranch_execnz .LBB27_64
.LBB27_48:                              ;   in Loop: Header=BB27_3 Depth=1
	s_or_b64 exec, exec, s[2:3]
	s_and_saveexec_b64 s[2:3], s[30:31]
	s_cbranch_execnz .LBB27_65
.LBB27_49:                              ;   in Loop: Header=BB27_3 Depth=1
	s_or_b64 exec, exec, s[2:3]
	s_and_saveexec_b64 s[2:3], s[34:35]
	s_cbranch_execz .LBB27_2
	s_branch .LBB27_66
.LBB27_50:                              ;   in Loop: Header=BB27_3 Depth=1
	v_ashrrev_i32_e32 v49, 31, v48
	v_lshlrev_b64 v[52:53], 2, v[48:49]
	s_waitcnt vmcnt(0)
	v_mov_b32_e32 v17, s67
	v_add_co_u32_e64 v52, s[36:37], s66, v52
	v_addc_co_u32_e64 v53, s[36:37], v17, v53, s[36:37]
	global_load_dword v17, v[52:53], off
	s_or_b64 exec, exec, s[48:49]
	s_and_saveexec_b64 s[48:49], vcc
	s_cbranch_execz .LBB27_35
.LBB27_51:                              ;   in Loop: Header=BB27_3 Depth=1
	s_waitcnt vmcnt(0)
	v_cmp_u_f32_e32 vcc, v2, v2
	v_addc_co_u32_e32 v1, vcc, 0, v1, vcc
	s_waitcnt lgkmcnt(0)
	v_cmp_gt_f32_e32 vcc, s65, v2
	v_addc_co_u32_e32 v50, vcc, 0, v50, vcc
	v_cmp_eq_f32_e32 vcc, s65, v2
	v_cmp_gt_i32_e64 s[36:37], s6, v18
	s_and_b64 vcc, vcc, s[36:37]
	v_addc_co_u32_e32 v51, vcc, 0, v51, vcc
	s_or_b64 exec, exec, s[48:49]
	s_and_saveexec_b64 s[36:37], s[0:1]
	s_cbranch_execz .LBB27_36
.LBB27_52:                              ;   in Loop: Header=BB27_3 Depth=1
	s_waitcnt vmcnt(0)
	v_cmp_u_f32_e32 vcc, v3, v3
	v_addc_co_u32_e32 v1, vcc, 0, v1, vcc
	s_waitcnt lgkmcnt(0)
	v_cmp_gt_f32_e32 vcc, s65, v3
	v_addc_co_u32_e32 v50, vcc, 0, v50, vcc
	v_cmp_eq_f32_e32 vcc, s65, v3
	v_cmp_gt_i32_e64 s[0:1], s6, v20
	s_and_b64 vcc, vcc, s[0:1]
	v_addc_co_u32_e32 v51, vcc, 0, v51, vcc
	s_or_b64 exec, exec, s[36:37]
	s_and_saveexec_b64 s[36:37], s[2:3]
	s_cbranch_execz .LBB27_37
.LBB27_53:                              ;   in Loop: Header=BB27_3 Depth=1
	s_waitcnt vmcnt(0)
	v_cmp_u_f32_e32 vcc, v4, v4
	v_addc_co_u32_e32 v1, vcc, 0, v1, vcc
	s_waitcnt lgkmcnt(0)
	v_cmp_gt_f32_e32 vcc, s65, v4
	v_addc_co_u32_e32 v50, vcc, 0, v50, vcc
	v_cmp_eq_f32_e32 vcc, s65, v4
	v_cmp_gt_i32_e64 s[0:1], s6, v22
	s_and_b64 vcc, vcc, s[0:1]
	v_addc_co_u32_e32 v51, vcc, 0, v51, vcc
	s_or_b64 exec, exec, s[36:37]
	s_and_saveexec_b64 s[2:3], s[8:9]
	s_cbranch_execz .LBB27_38
.LBB27_54:                              ;   in Loop: Header=BB27_3 Depth=1
	s_waitcnt vmcnt(0)
	v_cmp_u_f32_e32 vcc, v5, v5
	v_addc_co_u32_e32 v1, vcc, 0, v1, vcc
	s_waitcnt lgkmcnt(0)
	v_cmp_gt_f32_e32 vcc, s65, v5
	v_addc_co_u32_e32 v50, vcc, 0, v50, vcc
	v_cmp_eq_f32_e32 vcc, s65, v5
	v_cmp_gt_i32_e64 s[0:1], s6, v24
	s_and_b64 vcc, vcc, s[0:1]
	v_addc_co_u32_e32 v51, vcc, 0, v51, vcc
	s_or_b64 exec, exec, s[2:3]
	s_and_saveexec_b64 s[2:3], s[10:11]
	s_cbranch_execz .LBB27_39
.LBB27_55:                              ;   in Loop: Header=BB27_3 Depth=1
	s_waitcnt vmcnt(0)
	v_cmp_u_f32_e32 vcc, v6, v6
	v_addc_co_u32_e32 v1, vcc, 0, v1, vcc
	s_waitcnt lgkmcnt(0)
	v_cmp_gt_f32_e32 vcc, s65, v6
	v_addc_co_u32_e32 v50, vcc, 0, v50, vcc
	v_cmp_eq_f32_e32 vcc, s65, v6
	v_cmp_gt_i32_e64 s[0:1], s6, v26
	s_and_b64 vcc, vcc, s[0:1]
	v_addc_co_u32_e32 v51, vcc, 0, v51, vcc
	s_or_b64 exec, exec, s[2:3]
	s_and_saveexec_b64 s[2:3], s[12:13]
	s_cbranch_execz .LBB27_40
.LBB27_56:                              ;   in Loop: Header=BB27_3 Depth=1
	s_waitcnt vmcnt(0)
	v_cmp_u_f32_e32 vcc, v7, v7
	v_addc_co_u32_e32 v1, vcc, 0, v1, vcc
	s_waitcnt lgkmcnt(0)
	v_cmp_gt_f32_e32 vcc, s65, v7
	v_addc_co_u32_e32 v50, vcc, 0, v50, vcc
	v_cmp_eq_f32_e32 vcc, s65, v7
	v_cmp_gt_i32_e64 s[0:1], s6, v28
	s_and_b64 vcc, vcc, s[0:1]
	v_addc_co_u32_e32 v51, vcc, 0, v51, vcc
	s_or_b64 exec, exec, s[2:3]
	s_and_saveexec_b64 s[2:3], s[14:15]
	s_cbranch_execz .LBB27_41
.LBB27_57:                              ;   in Loop: Header=BB27_3 Depth=1
	s_waitcnt vmcnt(0)
	v_cmp_u_f32_e32 vcc, v8, v8
	v_addc_co_u32_e32 v1, vcc, 0, v1, vcc
	s_waitcnt lgkmcnt(0)
	v_cmp_gt_f32_e32 vcc, s65, v8
	v_addc_co_u32_e32 v50, vcc, 0, v50, vcc
	v_cmp_eq_f32_e32 vcc, s65, v8
	v_cmp_gt_i32_e64 s[0:1], s6, v30
	s_and_b64 vcc, vcc, s[0:1]
	v_addc_co_u32_e32 v51, vcc, 0, v51, vcc
	s_or_b64 exec, exec, s[2:3]
	s_and_saveexec_b64 s[2:3], s[16:17]
	s_cbranch_execz .LBB27_42
.LBB27_58:                              ;   in Loop: Header=BB27_3 Depth=1
	s_waitcnt vmcnt(0)
	v_cmp_u_f32_e32 vcc, v9, v9
	v_addc_co_u32_e32 v1, vcc, 0, v1, vcc
	s_waitcnt lgkmcnt(0)
	v_cmp_gt_f32_e32 vcc, s65, v9
	v_addc_co_u32_e32 v50, vcc, 0, v50, vcc
	v_cmp_eq_f32_e32 vcc, s65, v9
	v_cmp_gt_i32_e64 s[0:1], s6, v32
	s_and_b64 vcc, vcc, s[0:1]
	v_addc_co_u32_e32 v51, vcc, 0, v51, vcc
	s_or_b64 exec, exec, s[2:3]
	s_and_saveexec_b64 s[2:3], s[18:19]
	s_cbranch_execz .LBB27_43
.LBB27_59:                              ;   in Loop: Header=BB27_3 Depth=1
	s_waitcnt vmcnt(0)
	v_cmp_u_f32_e32 vcc, v10, v10
	v_addc_co_u32_e32 v1, vcc, 0, v1, vcc
	s_waitcnt lgkmcnt(0)
	v_cmp_gt_f32_e32 vcc, s65, v10
	v_addc_co_u32_e32 v50, vcc, 0, v50, vcc
	v_cmp_eq_f32_e32 vcc, s65, v10
	v_cmp_gt_i32_e64 s[0:1], s6, v34
	s_and_b64 vcc, vcc, s[0:1]
	v_addc_co_u32_e32 v51, vcc, 0, v51, vcc
	s_or_b64 exec, exec, s[2:3]
	s_and_saveexec_b64 s[2:3], s[20:21]
	s_cbranch_execz .LBB27_44
.LBB27_60:                              ;   in Loop: Header=BB27_3 Depth=1
	s_waitcnt vmcnt(0)
	v_cmp_u_f32_e32 vcc, v11, v11
	v_addc_co_u32_e32 v1, vcc, 0, v1, vcc
	s_waitcnt lgkmcnt(0)
	v_cmp_gt_f32_e32 vcc, s65, v11
	v_addc_co_u32_e32 v50, vcc, 0, v50, vcc
	v_cmp_eq_f32_e32 vcc, s65, v11
	v_cmp_gt_i32_e64 s[0:1], s6, v36
	s_and_b64 vcc, vcc, s[0:1]
	v_addc_co_u32_e32 v51, vcc, 0, v51, vcc
	s_or_b64 exec, exec, s[2:3]
	s_and_saveexec_b64 s[2:3], s[22:23]
	s_cbranch_execz .LBB27_45
.LBB27_61:                              ;   in Loop: Header=BB27_3 Depth=1
	s_waitcnt vmcnt(0)
	v_cmp_u_f32_e32 vcc, v12, v12
	v_addc_co_u32_e32 v1, vcc, 0, v1, vcc
	s_waitcnt lgkmcnt(0)
	v_cmp_gt_f32_e32 vcc, s65, v12
	v_addc_co_u32_e32 v50, vcc, 0, v50, vcc
	v_cmp_eq_f32_e32 vcc, s65, v12
	v_cmp_gt_i32_e64 s[0:1], s6, v38
	s_and_b64 vcc, vcc, s[0:1]
	v_addc_co_u32_e32 v51, vcc, 0, v51, vcc
	s_or_b64 exec, exec, s[2:3]
	s_and_saveexec_b64 s[2:3], s[24:25]
	s_cbranch_execz .LBB27_46
.LBB27_62:                              ;   in Loop: Header=BB27_3 Depth=1
	s_waitcnt vmcnt(0)
	v_cmp_u_f32_e32 vcc, v13, v13
	v_addc_co_u32_e32 v1, vcc, 0, v1, vcc
	s_waitcnt lgkmcnt(0)
	v_cmp_gt_f32_e32 vcc, s65, v13
	v_addc_co_u32_e32 v50, vcc, 0, v50, vcc
	v_cmp_eq_f32_e32 vcc, s65, v13
	v_cmp_gt_i32_e64 s[0:1], s6, v40
	s_and_b64 vcc, vcc, s[0:1]
	v_addc_co_u32_e32 v51, vcc, 0, v51, vcc
	s_or_b64 exec, exec, s[2:3]
	s_and_saveexec_b64 s[2:3], s[26:27]
	s_cbranch_execz .LBB27_47
.LBB27_63:                              ;   in Loop: Header=BB27_3 Depth=1
	s_waitcnt vmcnt(0)
	v_cmp_u_f32_e32 vcc, v14, v14
	v_addc_co_u32_e32 v1, vcc, 0, v1, vcc
	s_waitcnt lgkmcnt(0)
	v_cmp_gt_f32_e32 vcc, s65, v14
	v_addc_co_u32_e32 v50, vcc, 0, v50, vcc
	v_cmp_eq_f32_e32 vcc, s65, v14
	v_cmp_gt_i32_e64 s[0:1], s6, v42
	s_and_b64 vcc, vcc, s[0:1]
	v_addc_co_u32_e32 v51, vcc, 0, v51, vcc
	s_or_b64 exec, exec, s[2:3]
	s_and_saveexec_b64 s[2:3], s[28:29]
	s_cbranch_execz .LBB27_48
.LBB27_64:                              ;   in Loop: Header=BB27_3 Depth=1
	s_waitcnt vmcnt(0)
	v_cmp_u_f32_e32 vcc, v15, v15
	v_addc_co_u32_e32 v1, vcc, 0, v1, vcc
	s_waitcnt lgkmcnt(0)
	v_cmp_gt_f32_e32 vcc, s65, v15
	v_addc_co_u32_e32 v50, vcc, 0, v50, vcc
	v_cmp_eq_f32_e32 vcc, s65, v15
	v_cmp_gt_i32_e64 s[0:1], s6, v44
	s_and_b64 vcc, vcc, s[0:1]
	v_addc_co_u32_e32 v51, vcc, 0, v51, vcc
	s_or_b64 exec, exec, s[2:3]
	s_and_saveexec_b64 s[2:3], s[30:31]
	s_cbranch_execz .LBB27_49
.LBB27_65:                              ;   in Loop: Header=BB27_3 Depth=1
	s_waitcnt vmcnt(0)
	v_cmp_u_f32_e32 vcc, v16, v16
	v_addc_co_u32_e32 v1, vcc, 0, v1, vcc
	s_waitcnt lgkmcnt(0)
	v_cmp_gt_f32_e32 vcc, s65, v16
	v_addc_co_u32_e32 v50, vcc, 0, v50, vcc
	v_cmp_eq_f32_e32 vcc, s65, v16
	v_cmp_gt_i32_e64 s[0:1], s6, v46
	s_and_b64 vcc, vcc, s[0:1]
	v_addc_co_u32_e32 v51, vcc, 0, v51, vcc
	s_or_b64 exec, exec, s[2:3]
	s_and_saveexec_b64 s[2:3], s[34:35]
	s_cbranch_execz .LBB27_2
.LBB27_66:                              ;   in Loop: Header=BB27_3 Depth=1
	s_waitcnt vmcnt(0)
	v_cmp_u_f32_e32 vcc, v17, v17
	v_addc_co_u32_e32 v1, vcc, 0, v1, vcc
	s_waitcnt lgkmcnt(0)
	v_cmp_gt_f32_e32 vcc, s65, v17
	v_addc_co_u32_e32 v50, vcc, 0, v50, vcc
	v_cmp_eq_f32_e32 vcc, s65, v17
	v_cmp_gt_i32_e64 s[0:1], s6, v48
	s_and_b64 vcc, vcc, s[0:1]
	v_addc_co_u32_e32 v51, vcc, 0, v51, vcc
	s_branch .LBB27_2
.LBB27_67:
	s_mov_b64 s[0:1], -1
                                        ; implicit-def: $vgpr2_vgpr3_vgpr4_vgpr5_vgpr6_vgpr7_vgpr8_vgpr9_vgpr10_vgpr11_vgpr12_vgpr13_vgpr14_vgpr15_vgpr16_vgpr17
	v_lshlrev_b32_e32 v1, 2, v0
	s_cmp_lt_u32 s50, 2
	ds_write_b32 v1, v18
	s_cbranch_scc0 .LBB27_69
	s_branch .LBB27_73
.LBB27_68:
	v_add_u32_e32 v18, v50, v51
	v_cmp_eq_u32_e64 s[0:1], 0, v1
	v_lshlrev_b32_e32 v1, 2, v0
	s_cmp_lt_u32 s50, 2
	ds_write_b32 v1, v18
	s_cbranch_scc1 .LBB27_73
.LBB27_69:
	s_mov_b32 s8, s50
	s_branch .LBB27_71
.LBB27_70:                              ;   in Loop: Header=BB27_71 Depth=1
	s_or_b64 exec, exec, s[2:3]
	s_cmp_lt_u32 s8, 4
	s_mov_b32 s8, s9
	s_cbranch_scc1 .LBB27_73
.LBB27_71:                              ; =>This Inner Loop Header: Depth=1
	s_lshr_b32 s9, s8, 1
	v_cmp_gt_u32_e32 vcc, s9, v0
	s_waitcnt lgkmcnt(0)
	s_barrier
	s_and_saveexec_b64 s[2:3], vcc
	s_cbranch_execz .LBB27_70
; %bb.72:                               ;   in Loop: Header=BB27_71 Depth=1
	v_lshl_add_u32 v19, s9, 2, v1
	ds_read_b32 v19, v19
	s_waitcnt lgkmcnt(0)
	v_add_u32_e32 v18, v19, v18
	ds_write_b32 v1, v18
	s_branch .LBB27_70
.LBB27_73:
	v_mov_b32_e32 v1, 0
	s_xor_b64 s[2:3], s[0:1], -1
	s_mul_i32 s0, s33, s43
	s_mul_hi_u32 s1, s33, s42
	s_waitcnt lgkmcnt(0)
	s_barrier
	ds_read_b32 v18, v1
	s_add_i32 s0, s1, s0
	s_mul_i32 s1, s64, s42
	s_add_i32 s1, s0, s1
	s_mul_i32 s0, s33, s42
	s_lshl_b64 s[0:1], s[0:1], 2
	s_add_u32 s10, s40, s0
	s_addc_u32 s11, s41, s1
	s_waitcnt lgkmcnt(0)
	v_readfirstlane_b32 s0, v18
	v_cmp_eq_u32_e32 vcc, 0, v0
	s_and_saveexec_b64 s[8:9], vcc
	s_cbranch_execnz .LBB27_76
; %bb.74:
	s_or_b64 exec, exec, s[8:9]
	s_and_saveexec_b64 s[8:9], s[2:3]
	s_cbranch_execnz .LBB27_77
.LBB27_75:
	s_or_b64 exec, exec, s[8:9]
	s_andn2_b64 vcc, exec, s[46:47]
	s_cbranch_vccz .LBB27_78
	s_branch .LBB27_144
.LBB27_76:
	s_ashr_i32 s1, s0, 31
	s_lshl_b64 s[12:13], s[0:1], 2
	s_add_u32 s12, s10, s12
	s_addc_u32 s13, s11, s13
	v_mov_b32_e32 v18, s65
	global_store_dword v1, v18, s[12:13]
	s_or_b64 exec, exec, s[8:9]
	s_and_saveexec_b64 s[8:9], s[2:3]
	s_cbranch_execz .LBB27_75
.LBB27_77:
	s_add_u32 s2, s10, s44
	s_addc_u32 s3, s11, s45
	v_mov_b32_e32 v1, 0
	v_mov_b32_e32 v18, 0x7fc00000
	global_store_dword v1, v18, s[2:3]
	s_or_b64 exec, exec, s[8:9]
	s_andn2_b64 vcc, exec, s[46:47]
	s_cbranch_vccnz .LBB27_144
.LBB27_78:
	s_load_dwordx2 s[2:3], s[4:5], 0x30
	s_load_dwordx8 s[8:15], s[4:5], 0x38
	s_waitcnt lgkmcnt(0)
	s_ashr_i32 s5, s2, 31
	s_mov_b32 s4, s2
	s_mul_i32 s1, s33, s9
	s_mul_hi_u32 s2, s33, s8
	s_add_i32 s1, s2, s1
	s_mul_i32 s2, s64, s8
	s_add_i32 s9, s1, s2
	s_mul_i32 s8, s33, s8
	s_lshl_b64 s[8:9], s[8:9], 2
	s_add_u32 s1, s38, s8
	s_addc_u32 s2, s39, s9
	s_lshl_b64 s[4:5], s[4:5], 2
	s_add_u32 s1, s1, s4
	s_addc_u32 s16, s2, s5
	s_mul_i32 s2, s33, s15
	s_mul_hi_u32 s8, s33, s14
	s_add_i32 s2, s8, s2
	s_mul_i32 s8, s64, s14
	s_add_i32 s9, s2, s8
	s_mul_i32 s8, s33, s14
	s_ashr_i32 s5, s12, 31
	s_lshl_b64 s[8:9], s[8:9], 2
	s_mov_b32 s4, s12
	s_add_u32 s2, s10, s8
	s_addc_u32 s8, s11, s9
	s_lshl_b64 s[4:5], s[4:5], 2
	s_add_u32 s4, s2, s4
	s_mul_i32 s2, s6, s3
	s_addc_u32 s5, s8, s5
	s_ashr_i32 s3, s2, 31
	s_lshl_b64 s[2:3], s[2:3], 2
	s_add_u32 s33, s1, s2
	s_mul_i32 s0, s0, s13
	s_addc_u32 s36, s16, s3
	s_ashr_i32 s1, s0, 31
	s_lshl_b64 s[0:1], s[0:1], 2
	s_add_u32 s37, s4, s0
	s_addc_u32 s38, s5, s1
	s_add_i32 s39, s7, 1
	s_lshl_b32 s40, s50, 1
	s_lshl_b32 s41, s50, 2
	;; [unrolled: 1-line block ×3, first 2 shown]
	s_branch .LBB27_80
.LBB27_79:                              ;   in Loop: Header=BB27_80 Depth=1
	s_or_b64 exec, exec, s[0:1]
	s_add_i32 s39, s39, -1
	s_cmp_eq_u32 s39, 0
	v_add_u32_e32 v0, s51, v0
	s_cbranch_scc1 .LBB27_144
.LBB27_80:                              ; =>This Inner Loop Header: Depth=1
	v_cmp_gt_i32_e32 vcc, s52, v0
	v_ashrrev_i32_e32 v1, 31, v0
	s_and_saveexec_b64 s[2:3], vcc
	s_cbranch_execz .LBB27_82
; %bb.81:                               ;   in Loop: Header=BB27_80 Depth=1
	v_lshlrev_b64 v[18:19], 2, v[0:1]
	s_waitcnt vmcnt(0)
	v_mov_b32_e32 v2, s36
	v_add_co_u32_e64 v18, s[0:1], s33, v18
	v_addc_co_u32_e64 v19, s[0:1], v2, v19, s[0:1]
	global_load_dword v2, v[18:19], off
.LBB27_82:                              ;   in Loop: Header=BB27_80 Depth=1
	s_or_b64 exec, exec, s[2:3]
	v_add_u32_e32 v18, s50, v0
	v_cmp_gt_i32_e64 s[0:1], s52, v18
	v_ashrrev_i32_e32 v19, 31, v18
	s_and_saveexec_b64 s[4:5], s[0:1]
	s_cbranch_execz .LBB27_84
; %bb.83:                               ;   in Loop: Header=BB27_80 Depth=1
	v_lshlrev_b64 v[20:21], 2, v[18:19]
	s_waitcnt vmcnt(0)
	v_mov_b32_e32 v3, s36
	v_add_co_u32_e64 v20, s[2:3], s33, v20
	v_addc_co_u32_e64 v21, s[2:3], v3, v21, s[2:3]
	global_load_dword v3, v[20:21], off
.LBB27_84:                              ;   in Loop: Header=BB27_80 Depth=1
	s_or_b64 exec, exec, s[4:5]
	v_add_u32_e32 v20, s40, v0
	v_add_u32_e32 v23, s50, v18
	v_cmp_gt_i32_e64 s[2:3], s52, v23
	v_ashrrev_i32_e32 v21, 31, v20
	s_and_saveexec_b64 s[6:7], s[2:3]
	s_cbranch_execz .LBB27_86
; %bb.85:                               ;   in Loop: Header=BB27_80 Depth=1
	v_lshlrev_b64 v[24:25], 2, v[20:21]
	s_waitcnt vmcnt(0)
	v_mov_b32_e32 v4, s36
	v_add_co_u32_e64 v24, s[4:5], s33, v24
	v_addc_co_u32_e64 v25, s[4:5], v4, v25, s[4:5]
	global_load_dword v4, v[24:25], off
.LBB27_86:                              ;   in Loop: Header=BB27_80 Depth=1
	s_or_b64 exec, exec, s[6:7]
	v_add_u32_e32 v22, s53, v0
	;; [unrolled: 15-line block ×8, first 2 shown]
	v_add_u32_e32 v37, s50, v35
	v_cmp_gt_i32_e64 s[16:17], s52, v37
	v_ashrrev_i32_e32 v35, 31, v34
	s_and_saveexec_b64 s[20:21], s[16:17]
	s_cbranch_execz .LBB27_100
; %bb.99:                               ;   in Loop: Header=BB27_80 Depth=1
	v_lshlrev_b64 v[38:39], 2, v[34:35]
	s_waitcnt vmcnt(0)
	v_mov_b32_e32 v11, s36
	v_add_co_u32_e64 v38, s[18:19], s33, v38
	v_addc_co_u32_e64 v39, s[18:19], v11, v39, s[18:19]
	global_load_dword v11, v[38:39], off
.LBB27_100:                             ;   in Loop: Header=BB27_80 Depth=1
	s_or_b64 exec, exec, s[20:21]
	v_add_u32_e32 v36, s58, v0
	v_add_u32_e32 v39, s50, v37
	v_cmp_gt_i32_e64 s[18:19], s52, v39
	v_ashrrev_i32_e32 v37, 31, v36
	s_and_saveexec_b64 s[22:23], s[18:19]
	s_cbranch_execz .LBB27_102
; %bb.101:                              ;   in Loop: Header=BB27_80 Depth=1
	v_lshlrev_b64 v[40:41], 2, v[36:37]
	s_waitcnt vmcnt(0)
	v_mov_b32_e32 v12, s36
	v_add_co_u32_e64 v40, s[20:21], s33, v40
	v_addc_co_u32_e64 v41, s[20:21], v12, v41, s[20:21]
	global_load_dword v12, v[40:41], off
.LBB27_102:                             ;   in Loop: Header=BB27_80 Depth=1
	s_or_b64 exec, exec, s[22:23]
	v_add_u32_e32 v38, s59, v0
	v_add_u32_e32 v41, s50, v39
	v_cmp_gt_i32_e64 s[20:21], s52, v41
	v_ashrrev_i32_e32 v39, 31, v38
	s_and_saveexec_b64 s[24:25], s[20:21]
	s_cbranch_execz .LBB27_104
; %bb.103:                              ;   in Loop: Header=BB27_80 Depth=1
	v_lshlrev_b64 v[42:43], 2, v[38:39]
	s_waitcnt vmcnt(0)
	v_mov_b32_e32 v13, s36
	v_add_co_u32_e64 v42, s[22:23], s33, v42
	v_addc_co_u32_e64 v43, s[22:23], v13, v43, s[22:23]
	global_load_dword v13, v[42:43], off
.LBB27_104:                             ;   in Loop: Header=BB27_80 Depth=1
	;; [unrolled: 15-line block ×5, first 2 shown]
	s_or_b64 exec, exec, s[30:31]
	v_add_u32_e32 v46, s63, v0
	v_add_u32_e32 v47, s50, v47
	v_cmp_gt_i32_e64 s[28:29], s52, v47
	v_ashrrev_i32_e32 v47, 31, v46
	s_and_saveexec_b64 s[34:35], s[28:29]
	s_cbranch_execnz .LBB27_127
; %bb.111:                              ;   in Loop: Header=BB27_80 Depth=1
	s_or_b64 exec, exec, s[34:35]
	s_and_saveexec_b64 s[30:31], vcc
	s_cbranch_execnz .LBB27_128
.LBB27_112:                             ;   in Loop: Header=BB27_80 Depth=1
	s_or_b64 exec, exec, s[30:31]
	s_and_saveexec_b64 s[30:31], s[0:1]
	s_cbranch_execnz .LBB27_129
.LBB27_113:                             ;   in Loop: Header=BB27_80 Depth=1
	s_or_b64 exec, exec, s[30:31]
	s_and_saveexec_b64 s[0:1], s[2:3]
	s_cbranch_execnz .LBB27_130
.LBB27_114:                             ;   in Loop: Header=BB27_80 Depth=1
	s_or_b64 exec, exec, s[0:1]
	s_and_saveexec_b64 s[0:1], s[4:5]
	s_cbranch_execnz .LBB27_131
.LBB27_115:                             ;   in Loop: Header=BB27_80 Depth=1
	s_or_b64 exec, exec, s[0:1]
	s_and_saveexec_b64 s[0:1], s[6:7]
	s_cbranch_execnz .LBB27_132
.LBB27_116:                             ;   in Loop: Header=BB27_80 Depth=1
	s_or_b64 exec, exec, s[0:1]
	s_and_saveexec_b64 s[0:1], s[8:9]
	s_cbranch_execnz .LBB27_133
.LBB27_117:                             ;   in Loop: Header=BB27_80 Depth=1
	s_or_b64 exec, exec, s[0:1]
	s_and_saveexec_b64 s[0:1], s[10:11]
	s_cbranch_execnz .LBB27_134
.LBB27_118:                             ;   in Loop: Header=BB27_80 Depth=1
	s_or_b64 exec, exec, s[0:1]
	s_and_saveexec_b64 s[0:1], s[12:13]
	s_cbranch_execnz .LBB27_135
.LBB27_119:                             ;   in Loop: Header=BB27_80 Depth=1
	s_or_b64 exec, exec, s[0:1]
	s_and_saveexec_b64 s[0:1], s[14:15]
	s_cbranch_execnz .LBB27_136
.LBB27_120:                             ;   in Loop: Header=BB27_80 Depth=1
	s_or_b64 exec, exec, s[0:1]
	s_and_saveexec_b64 s[0:1], s[16:17]
	s_cbranch_execnz .LBB27_137
.LBB27_121:                             ;   in Loop: Header=BB27_80 Depth=1
	s_or_b64 exec, exec, s[0:1]
	s_and_saveexec_b64 s[0:1], s[18:19]
	s_cbranch_execnz .LBB27_138
.LBB27_122:                             ;   in Loop: Header=BB27_80 Depth=1
	s_or_b64 exec, exec, s[0:1]
	s_and_saveexec_b64 s[0:1], s[20:21]
	s_cbranch_execnz .LBB27_139
.LBB27_123:                             ;   in Loop: Header=BB27_80 Depth=1
	s_or_b64 exec, exec, s[0:1]
	s_and_saveexec_b64 s[0:1], s[22:23]
	s_cbranch_execnz .LBB27_140
.LBB27_124:                             ;   in Loop: Header=BB27_80 Depth=1
	s_or_b64 exec, exec, s[0:1]
	s_and_saveexec_b64 s[0:1], s[24:25]
	s_cbranch_execnz .LBB27_141
.LBB27_125:                             ;   in Loop: Header=BB27_80 Depth=1
	s_or_b64 exec, exec, s[0:1]
	s_and_saveexec_b64 s[0:1], s[26:27]
	s_cbranch_execnz .LBB27_142
.LBB27_126:                             ;   in Loop: Header=BB27_80 Depth=1
	s_or_b64 exec, exec, s[0:1]
	s_and_saveexec_b64 s[0:1], s[28:29]
	s_cbranch_execz .LBB27_79
	s_branch .LBB27_143
.LBB27_127:                             ;   in Loop: Header=BB27_80 Depth=1
	v_lshlrev_b64 v[48:49], 2, v[46:47]
	s_waitcnt vmcnt(0)
	v_mov_b32_e32 v17, s36
	v_add_co_u32_e64 v48, s[30:31], s33, v48
	v_addc_co_u32_e64 v49, s[30:31], v17, v49, s[30:31]
	global_load_dword v17, v[48:49], off
	s_or_b64 exec, exec, s[34:35]
	s_and_saveexec_b64 s[30:31], vcc
	s_cbranch_execz .LBB27_112
.LBB27_128:                             ;   in Loop: Header=BB27_80 Depth=1
	v_lshlrev_b64 v[48:49], 2, v[0:1]
	v_mov_b32_e32 v1, s38
	v_add_co_u32_e32 v48, vcc, s37, v48
	v_addc_co_u32_e32 v49, vcc, v1, v49, vcc
	s_waitcnt vmcnt(0)
	global_store_dword v[48:49], v2, off
	s_or_b64 exec, exec, s[30:31]
	s_and_saveexec_b64 s[30:31], s[0:1]
	s_cbranch_execz .LBB27_113
.LBB27_129:                             ;   in Loop: Header=BB27_80 Depth=1
	v_lshlrev_b64 v[18:19], 2, v[18:19]
	v_mov_b32_e32 v1, s38
	v_add_co_u32_e32 v18, vcc, s37, v18
	v_addc_co_u32_e32 v19, vcc, v1, v19, vcc
	s_waitcnt vmcnt(0)
	global_store_dword v[18:19], v3, off
	s_or_b64 exec, exec, s[30:31]
	s_and_saveexec_b64 s[0:1], s[2:3]
	s_cbranch_execz .LBB27_114
.LBB27_130:                             ;   in Loop: Header=BB27_80 Depth=1
	v_lshlrev_b64 v[18:19], 2, v[20:21]
	v_mov_b32_e32 v1, s38
	v_add_co_u32_e32 v18, vcc, s37, v18
	v_addc_co_u32_e32 v19, vcc, v1, v19, vcc
	s_waitcnt vmcnt(0)
	global_store_dword v[18:19], v4, off
	s_or_b64 exec, exec, s[0:1]
	s_and_saveexec_b64 s[0:1], s[4:5]
	s_cbranch_execz .LBB27_115
.LBB27_131:                             ;   in Loop: Header=BB27_80 Depth=1
	v_lshlrev_b64 v[18:19], 2, v[22:23]
	v_mov_b32_e32 v1, s38
	v_add_co_u32_e32 v18, vcc, s37, v18
	v_addc_co_u32_e32 v19, vcc, v1, v19, vcc
	s_waitcnt vmcnt(0)
	global_store_dword v[18:19], v5, off
	s_or_b64 exec, exec, s[0:1]
	s_and_saveexec_b64 s[0:1], s[6:7]
	s_cbranch_execz .LBB27_116
.LBB27_132:                             ;   in Loop: Header=BB27_80 Depth=1
	v_lshlrev_b64 v[18:19], 2, v[24:25]
	v_mov_b32_e32 v1, s38
	v_add_co_u32_e32 v18, vcc, s37, v18
	v_addc_co_u32_e32 v19, vcc, v1, v19, vcc
	s_waitcnt vmcnt(0)
	global_store_dword v[18:19], v6, off
	s_or_b64 exec, exec, s[0:1]
	s_and_saveexec_b64 s[0:1], s[8:9]
	s_cbranch_execz .LBB27_117
.LBB27_133:                             ;   in Loop: Header=BB27_80 Depth=1
	v_lshlrev_b64 v[18:19], 2, v[26:27]
	v_mov_b32_e32 v1, s38
	v_add_co_u32_e32 v18, vcc, s37, v18
	v_addc_co_u32_e32 v19, vcc, v1, v19, vcc
	s_waitcnt vmcnt(0)
	global_store_dword v[18:19], v7, off
	s_or_b64 exec, exec, s[0:1]
	s_and_saveexec_b64 s[0:1], s[10:11]
	s_cbranch_execz .LBB27_118
.LBB27_134:                             ;   in Loop: Header=BB27_80 Depth=1
	v_lshlrev_b64 v[18:19], 2, v[28:29]
	v_mov_b32_e32 v1, s38
	v_add_co_u32_e32 v18, vcc, s37, v18
	v_addc_co_u32_e32 v19, vcc, v1, v19, vcc
	s_waitcnt vmcnt(0)
	global_store_dword v[18:19], v8, off
	s_or_b64 exec, exec, s[0:1]
	s_and_saveexec_b64 s[0:1], s[12:13]
	s_cbranch_execz .LBB27_119
.LBB27_135:                             ;   in Loop: Header=BB27_80 Depth=1
	v_lshlrev_b64 v[18:19], 2, v[30:31]
	v_mov_b32_e32 v1, s38
	v_add_co_u32_e32 v18, vcc, s37, v18
	v_addc_co_u32_e32 v19, vcc, v1, v19, vcc
	s_waitcnt vmcnt(0)
	global_store_dword v[18:19], v9, off
	s_or_b64 exec, exec, s[0:1]
	s_and_saveexec_b64 s[0:1], s[14:15]
	s_cbranch_execz .LBB27_120
.LBB27_136:                             ;   in Loop: Header=BB27_80 Depth=1
	v_lshlrev_b64 v[18:19], 2, v[32:33]
	v_mov_b32_e32 v1, s38
	v_add_co_u32_e32 v18, vcc, s37, v18
	v_addc_co_u32_e32 v19, vcc, v1, v19, vcc
	s_waitcnt vmcnt(0)
	global_store_dword v[18:19], v10, off
	s_or_b64 exec, exec, s[0:1]
	s_and_saveexec_b64 s[0:1], s[16:17]
	s_cbranch_execz .LBB27_121
.LBB27_137:                             ;   in Loop: Header=BB27_80 Depth=1
	v_lshlrev_b64 v[18:19], 2, v[34:35]
	v_mov_b32_e32 v1, s38
	v_add_co_u32_e32 v18, vcc, s37, v18
	v_addc_co_u32_e32 v19, vcc, v1, v19, vcc
	s_waitcnt vmcnt(0)
	global_store_dword v[18:19], v11, off
	s_or_b64 exec, exec, s[0:1]
	s_and_saveexec_b64 s[0:1], s[18:19]
	s_cbranch_execz .LBB27_122
.LBB27_138:                             ;   in Loop: Header=BB27_80 Depth=1
	v_lshlrev_b64 v[18:19], 2, v[36:37]
	v_mov_b32_e32 v1, s38
	v_add_co_u32_e32 v18, vcc, s37, v18
	v_addc_co_u32_e32 v19, vcc, v1, v19, vcc
	s_waitcnt vmcnt(0)
	global_store_dword v[18:19], v12, off
	s_or_b64 exec, exec, s[0:1]
	s_and_saveexec_b64 s[0:1], s[20:21]
	s_cbranch_execz .LBB27_123
.LBB27_139:                             ;   in Loop: Header=BB27_80 Depth=1
	v_lshlrev_b64 v[18:19], 2, v[38:39]
	v_mov_b32_e32 v1, s38
	v_add_co_u32_e32 v18, vcc, s37, v18
	v_addc_co_u32_e32 v19, vcc, v1, v19, vcc
	s_waitcnt vmcnt(0)
	global_store_dword v[18:19], v13, off
	s_or_b64 exec, exec, s[0:1]
	s_and_saveexec_b64 s[0:1], s[22:23]
	s_cbranch_execz .LBB27_124
.LBB27_140:                             ;   in Loop: Header=BB27_80 Depth=1
	v_lshlrev_b64 v[18:19], 2, v[40:41]
	v_mov_b32_e32 v1, s38
	v_add_co_u32_e32 v18, vcc, s37, v18
	v_addc_co_u32_e32 v19, vcc, v1, v19, vcc
	s_waitcnt vmcnt(0)
	global_store_dword v[18:19], v14, off
	s_or_b64 exec, exec, s[0:1]
	s_and_saveexec_b64 s[0:1], s[24:25]
	s_cbranch_execz .LBB27_125
.LBB27_141:                             ;   in Loop: Header=BB27_80 Depth=1
	v_lshlrev_b64 v[18:19], 2, v[42:43]
	v_mov_b32_e32 v1, s38
	v_add_co_u32_e32 v18, vcc, s37, v18
	v_addc_co_u32_e32 v19, vcc, v1, v19, vcc
	s_waitcnt vmcnt(0)
	global_store_dword v[18:19], v15, off
	s_or_b64 exec, exec, s[0:1]
	s_and_saveexec_b64 s[0:1], s[26:27]
	s_cbranch_execz .LBB27_126
.LBB27_142:                             ;   in Loop: Header=BB27_80 Depth=1
	v_lshlrev_b64 v[18:19], 2, v[44:45]
	v_mov_b32_e32 v1, s38
	v_add_co_u32_e32 v18, vcc, s37, v18
	v_addc_co_u32_e32 v19, vcc, v1, v19, vcc
	s_waitcnt vmcnt(0)
	global_store_dword v[18:19], v16, off
	s_or_b64 exec, exec, s[0:1]
	s_and_saveexec_b64 s[0:1], s[28:29]
	s_cbranch_execz .LBB27_79
.LBB27_143:                             ;   in Loop: Header=BB27_80 Depth=1
	v_lshlrev_b64 v[18:19], 2, v[46:47]
	v_mov_b32_e32 v1, s38
	v_add_co_u32_e32 v18, vcc, s37, v18
	v_addc_co_u32_e32 v19, vcc, v1, v19, vcc
	s_waitcnt vmcnt(0)
	global_store_dword v[18:19], v17, off
	s_branch .LBB27_79
.LBB27_144:
	s_endpgm
	.section	.rodata,"a",@progbits
	.p2align	6, 0x0
	.amdhsa_kernel _ZN9rocsolver6v33100L10stedc_sortIffPfS2_EEviPT0_lS4_lT1_iilT2_iil
		.amdhsa_group_segment_fixed_size 2048
		.amdhsa_private_segment_fixed_size 0
		.amdhsa_kernarg_size 344
		.amdhsa_user_sgpr_count 6
		.amdhsa_user_sgpr_private_segment_buffer 1
		.amdhsa_user_sgpr_dispatch_ptr 0
		.amdhsa_user_sgpr_queue_ptr 0
		.amdhsa_user_sgpr_kernarg_segment_ptr 1
		.amdhsa_user_sgpr_dispatch_id 0
		.amdhsa_user_sgpr_flat_scratch_init 0
		.amdhsa_user_sgpr_kernarg_preload_length 0
		.amdhsa_user_sgpr_kernarg_preload_offset 0
		.amdhsa_user_sgpr_private_segment_size 0
		.amdhsa_uses_dynamic_stack 0
		.amdhsa_system_sgpr_private_segment_wavefront_offset 0
		.amdhsa_system_sgpr_workgroup_id_x 1
		.amdhsa_system_sgpr_workgroup_id_y 1
		.amdhsa_system_sgpr_workgroup_id_z 0
		.amdhsa_system_sgpr_workgroup_info 0
		.amdhsa_system_vgpr_workitem_id 0
		.amdhsa_next_free_vgpr 54
		.amdhsa_next_free_sgpr 72
		.amdhsa_accum_offset 56
		.amdhsa_reserve_vcc 1
		.amdhsa_reserve_flat_scratch 0
		.amdhsa_float_round_mode_32 0
		.amdhsa_float_round_mode_16_64 0
		.amdhsa_float_denorm_mode_32 3
		.amdhsa_float_denorm_mode_16_64 3
		.amdhsa_dx10_clamp 1
		.amdhsa_ieee_mode 1
		.amdhsa_fp16_overflow 0
		.amdhsa_tg_split 0
		.amdhsa_exception_fp_ieee_invalid_op 0
		.amdhsa_exception_fp_denorm_src 0
		.amdhsa_exception_fp_ieee_div_zero 0
		.amdhsa_exception_fp_ieee_overflow 0
		.amdhsa_exception_fp_ieee_underflow 0
		.amdhsa_exception_fp_ieee_inexact 0
		.amdhsa_exception_int_div_zero 0
	.end_amdhsa_kernel
	.section	.text._ZN9rocsolver6v33100L10stedc_sortIffPfS2_EEviPT0_lS4_lT1_iilT2_iil,"axG",@progbits,_ZN9rocsolver6v33100L10stedc_sortIffPfS2_EEviPT0_lS4_lT1_iilT2_iil,comdat
.Lfunc_end27:
	.size	_ZN9rocsolver6v33100L10stedc_sortIffPfS2_EEviPT0_lS4_lT1_iilT2_iil, .Lfunc_end27-_ZN9rocsolver6v33100L10stedc_sortIffPfS2_EEviPT0_lS4_lT1_iilT2_iil
                                        ; -- End function
	.section	.AMDGPU.csdata,"",@progbits
; Kernel info:
; codeLenInByte = 5096
; NumSgprs: 76
; NumVgprs: 54
; NumAgprs: 0
; TotalNumVgprs: 54
; ScratchSize: 0
; MemoryBound: 0
; FloatMode: 240
; IeeeMode: 1
; LDSByteSize: 2048 bytes/workgroup (compile time only)
; SGPRBlocks: 9
; VGPRBlocks: 6
; NumSGPRsForWavesPerEU: 76
; NumVGPRsForWavesPerEU: 54
; AccumOffset: 56
; Occupancy: 8
; WaveLimiterHint : 0
; COMPUTE_PGM_RSRC2:SCRATCH_EN: 0
; COMPUTE_PGM_RSRC2:USER_SGPR: 6
; COMPUTE_PGM_RSRC2:TRAP_HANDLER: 0
; COMPUTE_PGM_RSRC2:TGID_X_EN: 1
; COMPUTE_PGM_RSRC2:TGID_Y_EN: 1
; COMPUTE_PGM_RSRC2:TGID_Z_EN: 0
; COMPUTE_PGM_RSRC2:TIDIG_COMP_CNT: 0
; COMPUTE_PGM_RSRC3_GFX90A:ACCUM_OFFSET: 13
; COMPUTE_PGM_RSRC3_GFX90A:TG_SPLIT: 0
	.section	.text._ZN9rocsolver6v33100L16reset_batch_infoIdiiPdEEvT2_lT0_T1_,"axG",@progbits,_ZN9rocsolver6v33100L16reset_batch_infoIdiiPdEEvT2_lT0_T1_,comdat
	.globl	_ZN9rocsolver6v33100L16reset_batch_infoIdiiPdEEvT2_lT0_T1_ ; -- Begin function _ZN9rocsolver6v33100L16reset_batch_infoIdiiPdEEvT2_lT0_T1_
	.p2align	8
	.type	_ZN9rocsolver6v33100L16reset_batch_infoIdiiPdEEvT2_lT0_T1_,@function
_ZN9rocsolver6v33100L16reset_batch_infoIdiiPdEEvT2_lT0_T1_: ; @_ZN9rocsolver6v33100L16reset_batch_infoIdiiPdEEvT2_lT0_T1_
; %bb.0:
	s_load_dword s2, s[4:5], 0x24
	s_load_dwordx2 s[0:1], s[4:5], 0x10
	s_waitcnt lgkmcnt(0)
	s_and_b32 s2, s2, 0xffff
	s_mul_i32 s6, s6, s2
	v_add_u32_e32 v0, s6, v0
	v_cmp_gt_i32_e32 vcc, s0, v0
	s_and_saveexec_b64 s[2:3], vcc
	s_cbranch_execz .LBB28_2
; %bb.1:
	s_load_dwordx4 s[8:11], s[4:5], 0x0
	s_ashr_i32 s0, s7, 31
	v_ashrrev_i32_e32 v1, 31, v0
	v_lshlrev_b64 v[0:1], 3, v[0:1]
	s_waitcnt lgkmcnt(0)
	s_mul_i32 s3, s7, s11
	s_mul_hi_u32 s4, s7, s10
	s_mul_i32 s0, s0, s10
	s_add_i32 s3, s4, s3
	s_mul_i32 s2, s7, s10
	s_add_i32 s3, s3, s0
	s_lshl_b64 s[2:3], s[2:3], 3
	s_add_u32 s0, s8, s2
	s_addc_u32 s2, s9, s3
	v_mov_b32_e32 v2, s2
	v_add_co_u32_e32 v0, vcc, s0, v0
	v_addc_co_u32_e32 v1, vcc, v2, v1, vcc
	v_cvt_f64_i32_e32 v[2:3], s1
	global_store_dwordx2 v[0:1], v[2:3], off
.LBB28_2:
	s_endpgm
	.section	.rodata,"a",@progbits
	.p2align	6, 0x0
	.amdhsa_kernel _ZN9rocsolver6v33100L16reset_batch_infoIdiiPdEEvT2_lT0_T1_
		.amdhsa_group_segment_fixed_size 0
		.amdhsa_private_segment_fixed_size 0
		.amdhsa_kernarg_size 280
		.amdhsa_user_sgpr_count 6
		.amdhsa_user_sgpr_private_segment_buffer 1
		.amdhsa_user_sgpr_dispatch_ptr 0
		.amdhsa_user_sgpr_queue_ptr 0
		.amdhsa_user_sgpr_kernarg_segment_ptr 1
		.amdhsa_user_sgpr_dispatch_id 0
		.amdhsa_user_sgpr_flat_scratch_init 0
		.amdhsa_user_sgpr_kernarg_preload_length 0
		.amdhsa_user_sgpr_kernarg_preload_offset 0
		.amdhsa_user_sgpr_private_segment_size 0
		.amdhsa_uses_dynamic_stack 0
		.amdhsa_system_sgpr_private_segment_wavefront_offset 0
		.amdhsa_system_sgpr_workgroup_id_x 1
		.amdhsa_system_sgpr_workgroup_id_y 1
		.amdhsa_system_sgpr_workgroup_id_z 0
		.amdhsa_system_sgpr_workgroup_info 0
		.amdhsa_system_vgpr_workitem_id 0
		.amdhsa_next_free_vgpr 4
		.amdhsa_next_free_sgpr 12
		.amdhsa_accum_offset 4
		.amdhsa_reserve_vcc 1
		.amdhsa_reserve_flat_scratch 0
		.amdhsa_float_round_mode_32 0
		.amdhsa_float_round_mode_16_64 0
		.amdhsa_float_denorm_mode_32 3
		.amdhsa_float_denorm_mode_16_64 3
		.amdhsa_dx10_clamp 1
		.amdhsa_ieee_mode 1
		.amdhsa_fp16_overflow 0
		.amdhsa_tg_split 0
		.amdhsa_exception_fp_ieee_invalid_op 0
		.amdhsa_exception_fp_denorm_src 0
		.amdhsa_exception_fp_ieee_div_zero 0
		.amdhsa_exception_fp_ieee_overflow 0
		.amdhsa_exception_fp_ieee_underflow 0
		.amdhsa_exception_fp_ieee_inexact 0
		.amdhsa_exception_int_div_zero 0
	.end_amdhsa_kernel
	.section	.text._ZN9rocsolver6v33100L16reset_batch_infoIdiiPdEEvT2_lT0_T1_,"axG",@progbits,_ZN9rocsolver6v33100L16reset_batch_infoIdiiPdEEvT2_lT0_T1_,comdat
.Lfunc_end28:
	.size	_ZN9rocsolver6v33100L16reset_batch_infoIdiiPdEEvT2_lT0_T1_, .Lfunc_end28-_ZN9rocsolver6v33100L16reset_batch_infoIdiiPdEEvT2_lT0_T1_
                                        ; -- End function
	.section	.AMDGPU.csdata,"",@progbits
; Kernel info:
; codeLenInByte = 140
; NumSgprs: 16
; NumVgprs: 4
; NumAgprs: 0
; TotalNumVgprs: 4
; ScratchSize: 0
; MemoryBound: 0
; FloatMode: 240
; IeeeMode: 1
; LDSByteSize: 0 bytes/workgroup (compile time only)
; SGPRBlocks: 1
; VGPRBlocks: 0
; NumSGPRsForWavesPerEU: 16
; NumVGPRsForWavesPerEU: 4
; AccumOffset: 4
; Occupancy: 8
; WaveLimiterHint : 0
; COMPUTE_PGM_RSRC2:SCRATCH_EN: 0
; COMPUTE_PGM_RSRC2:USER_SGPR: 6
; COMPUTE_PGM_RSRC2:TRAP_HANDLER: 0
; COMPUTE_PGM_RSRC2:TGID_X_EN: 1
; COMPUTE_PGM_RSRC2:TGID_Y_EN: 1
; COMPUTE_PGM_RSRC2:TGID_Z_EN: 0
; COMPUTE_PGM_RSRC2:TIDIG_COMP_CNT: 0
; COMPUTE_PGM_RSRC3_GFX90A:ACCUM_OFFSET: 0
; COMPUTE_PGM_RSRC3_GFX90A:TG_SPLIT: 0
	.section	.text._ZN9rocsolver6v33100L12sterf_kernelIdEEviPT_lS3_lPiS4_iS2_S2_S2_,"axG",@progbits,_ZN9rocsolver6v33100L12sterf_kernelIdEEviPT_lS3_lPiS4_iS2_S2_S2_,comdat
	.globl	_ZN9rocsolver6v33100L12sterf_kernelIdEEviPT_lS3_lPiS4_iS2_S2_S2_ ; -- Begin function _ZN9rocsolver6v33100L12sterf_kernelIdEEviPT_lS3_lPiS4_iS2_S2_S2_
	.p2align	8
	.type	_ZN9rocsolver6v33100L12sterf_kernelIdEEviPT_lS3_lPiS4_iS2_S2_S2_,@function
_ZN9rocsolver6v33100L12sterf_kernelIdEEviPT_lS3_lPiS4_iS2_S2_S2_: ; @_ZN9rocsolver6v33100L12sterf_kernelIdEEviPT_lS3_lPiS4_iS2_S2_S2_
; %bb.0:
	s_load_dwordx8 s[12:19], s[4:5], 0x8
	s_load_dword s33, s[4:5], 0x0
	s_load_dword s58, s[4:5], 0x38
	s_ashr_i32 s7, s6, 31
	s_waitcnt lgkmcnt(0)
	s_mul_i32 s0, s6, s15
	s_mul_hi_u32 s1, s6, s14
	s_add_i32 s0, s1, s0
	s_mul_i32 s1, s7, s14
	s_add_i32 s1, s0, s1
	s_mul_i32 s0, s6, s14
	s_lshl_b64 s[10:11], s[0:1], 3
	s_add_u32 s56, s12, s10
	s_mul_i32 s0, s6, s19
	s_mul_hi_u32 s1, s6, s18
	s_addc_u32 s57, s13, s11
	s_add_i32 s0, s1, s0
	s_mul_i32 s1, s7, s18
	s_add_i32 s1, s0, s1
	s_mul_i32 s0, s6, s18
	s_lshl_b64 s[0:1], s[0:1], 3
	s_add_u32 s14, s16, s0
	s_addc_u32 s15, s17, s1
	s_min_i32 s2, s33, s58
	s_cmp_lt_i32 s2, 1
	s_cbranch_scc1 .LBB29_152
; %bb.1:
	s_add_i32 s59, s33, -1
	s_add_u32 s60, s14, -8
	s_addc_u32 s61, s15, -1
	s_add_u32 s62, s56, -8
	s_addc_u32 s63, s57, -1
	s_add_u32 s64, s16, s0
	s_addc_u32 s65, s17, s1
	s_add_u32 s66, s64, -8
	s_addc_u32 s67, s65, -1
	s_add_u32 s68, s12, s10
	s_load_dwordx4 s[20:23], s[4:5], 0x40
	s_load_dwordx2 s[18:19], s[4:5], 0x50
	s_addc_u32 s69, s13, s11
	s_add_u32 s70, s68, 8
	s_addc_u32 s71, s69, 0
	s_add_u32 s72, s64, 8
	s_mov_b32 s24, 0
	s_mov_b32 s26, 0x667f3bcd
	s_waitcnt lgkmcnt(0)
	v_mul_f64 v[0:1], s[20:21], s[20:21]
	s_addc_u32 s73, s65, 0
	s_mov_b32 s17, 0
	v_mov_b32_e32 v2, 0
	s_brev_b32 s25, 8
	v_mov_b32_e32 v24, 0x260
	s_mov_b32 s27, 0x3ff6a09e
	s_mov_b32 s74, 0
	;; [unrolled: 1-line block ×3, first 2 shown]
	s_branch .LBB29_4
.LBB29_2:                               ;   in Loop: Header=BB29_4 Depth=1
	s_cmp_ge_i32 s37, s58
	s_cselect_b64 s[0:1], -1, 0
	s_cmp_ge_i32 s74, s33
	s_cselect_b64 s[2:3], -1, 0
	s_or_b64 s[0:1], s[2:3], s[0:1]
.LBB29_3:                               ;   in Loop: Header=BB29_4 Depth=1
	s_and_b64 vcc, exec, s[0:1]
	s_mov_b32 s75, s37
	s_cbranch_vccnz .LBB29_152
.LBB29_4:                               ; =>This Loop Header: Depth=1
                                        ;     Child Loop BB29_6 Depth 2
                                        ;       Child Loop BB29_12 Depth 3
                                        ;       Child Loop BB29_19 Depth 3
                                        ;     Child Loop BB29_36 Depth 2
                                        ;     Child Loop BB29_30 Depth 2
	;; [unrolled: 1-line block ×4, first 2 shown]
                                        ;       Child Loop BB29_51 Depth 3
                                        ;       Child Loop BB29_63 Depth 3
                                        ;     Child Loop BB29_97 Depth 2
                                        ;       Child Loop BB29_99 Depth 3
                                        ;       Child Loop BB29_112 Depth 3
                                        ;     Child Loop BB29_147 Depth 2
                                        ;     Child Loop BB29_151 Depth 2
	s_mov_b32 s0, s74
	s_branch .LBB29_6
.LBB29_5:                               ;   in Loop: Header=BB29_6 Depth=2
	s_andn2_b64 vcc, exec, s[34:35]
	s_mov_b32 s0, s74
	s_cbranch_vccz .LBB29_25
.LBB29_6:                               ;   Parent Loop BB29_4 Depth=1
                                        ; =>  This Loop Header: Depth=2
                                        ;       Child Loop BB29_12 Depth 3
                                        ;       Child Loop BB29_19 Depth 3
	s_cmp_gt_i32 s0, 0
	s_mov_b64 s[8:9], -1
                                        ; implicit-def: $sgpr2_sgpr3
	s_cbranch_scc1 .LBB29_8
; %bb.7:                                ;   in Loop: Header=BB29_6 Depth=2
	s_mov_b32 s1, s17
	s_mov_b64 s[8:9], 0
	s_mov_b64 s[2:3], s[0:1]
.LBB29_8:                               ;   in Loop: Header=BB29_6 Depth=2
	s_andn2_b64 vcc, exec, s[8:9]
	s_cbranch_vccnz .LBB29_10
; %bb.9:                                ;   in Loop: Header=BB29_6 Depth=2
	s_mov_b32 s1, s17
	s_lshl_b64 s[2:3], s[0:1], 3
	s_add_u32 s2, s60, s2
	s_addc_u32 s3, s61, s3
	v_mov_b32_e32 v3, v2
	global_store_dwordx2 v2, v[2:3], s[2:3]
	s_mov_b64 s[2:3], s[0:1]
.LBB29_10:                              ;   in Loop: Header=BB29_6 Depth=2
	s_lshl_b64 s[28:29], s[2:3], 3
	s_add_u32 s34, s66, s28
	s_addc_u32 s35, s67, s29
	s_add_u32 s8, s70, s28
	s_addc_u32 s9, s71, s29
	s_mov_b32 s74, s0
	s_branch .LBB29_12
.LBB29_11:                              ;   in Loop: Header=BB29_12 Depth=3
	s_andn2_b64 vcc, exec, s[38:39]
	s_cbranch_vccz .LBB29_14
.LBB29_12:                              ;   Parent Loop BB29_4 Depth=1
                                        ;     Parent Loop BB29_6 Depth=2
                                        ; =>    This Inner Loop Header: Depth=3
	s_mov_b64 s[36:37], -1
	s_mov_b32 s16, s74
	s_cmp_ge_i32 s74, s59
	s_mov_b64 s[38:39], -1
                                        ; implicit-def: $sgpr74
                                        ; implicit-def: $sgpr30_sgpr31
	s_cbranch_scc1 .LBB29_11
; %bb.13:                               ;   in Loop: Header=BB29_12 Depth=3
	global_load_dwordx4 v[4:7], v2, s[8:9] offset:-8
	global_load_dwordx2 v[8:9], v2, s[34:35] offset:8
	s_add_u32 s30, s34, 8
	s_addc_u32 s31, s35, 0
	s_mov_b64 s[36:37], 0
	s_waitcnt vmcnt(1)
	v_cmp_lt_f64_e64 s[34:35], |v[4:5]|, s[24:25]
	v_cndmask_b32_e64 v3, 0, 1, s[34:35]
	v_cmp_lt_f64_e64 s[38:39], |v[6:7]|, s[24:25]
	v_cndmask_b32_e64 v10, 0, 1, s[38:39]
	v_lshlrev_b32_e32 v3, 8, v3
	v_lshlrev_b32_e32 v10, 8, v10
	v_ldexp_f64 v[4:5], |v[4:5]|, v3
	v_ldexp_f64 v[6:7], |v[6:7]|, v10
	v_rsq_f64_e32 v[10:11], v[4:5]
	v_rsq_f64_e32 v[12:13], v[6:7]
	s_and_b64 s[34:35], s[34:35], exec
	s_cselect_b32 s1, 0xffffff80, 0
	v_mul_f64 v[14:15], v[4:5], v[10:11]
	v_mul_f64 v[10:11], v[10:11], 0.5
	v_mul_f64 v[16:17], v[6:7], v[12:13]
	v_mul_f64 v[12:13], v[12:13], 0.5
	v_fma_f64 v[18:19], -v[10:11], v[14:15], 0.5
	v_fma_f64 v[20:21], -v[12:13], v[16:17], 0.5
	v_fmac_f64_e32 v[14:15], v[14:15], v[18:19]
	v_fmac_f64_e32 v[10:11], v[10:11], v[18:19]
	;; [unrolled: 1-line block ×3, first 2 shown]
	v_fma_f64 v[18:19], -v[14:15], v[14:15], v[4:5]
	v_fmac_f64_e32 v[12:13], v[12:13], v[20:21]
	v_fma_f64 v[20:21], -v[16:17], v[16:17], v[6:7]
	v_fmac_f64_e32 v[14:15], v[18:19], v[10:11]
	s_add_i32 s74, s16, 1
	v_fmac_f64_e32 v[16:17], v[20:21], v[12:13]
	v_fma_f64 v[18:19], -v[14:15], v[14:15], v[4:5]
	s_and_b64 s[34:35], s[38:39], exec
	v_fma_f64 v[20:21], -v[16:17], v[16:17], v[6:7]
	v_fmac_f64_e32 v[14:15], v[18:19], v[10:11]
	s_cselect_b32 s34, 0xffffff80, 0
	v_fmac_f64_e32 v[16:17], v[20:21], v[12:13]
	v_ldexp_f64 v[10:11], v[14:15], s1
	v_cmp_class_f64_e32 vcc, v[4:5], v24
	v_ldexp_f64 v[12:13], v[16:17], s34
	v_cndmask_b32_e32 v5, v11, v5, vcc
	v_cndmask_b32_e32 v4, v10, v4, vcc
	v_cmp_class_f64_e32 vcc, v[6:7], v24
	v_cndmask_b32_e32 v7, v13, v7, vcc
	v_cndmask_b32_e32 v6, v12, v6, vcc
	v_mul_f64 v[4:5], v[4:5], v[6:7]
	s_add_u32 s8, s8, 8
	v_mul_f64 v[4:5], v[4:5], s[20:21]
	s_addc_u32 s9, s9, 0
	s_waitcnt vmcnt(0)
	v_cmp_le_f64_e64 s[38:39], |v[8:9]|, v[4:5]
	s_mov_b64 s[34:35], s[30:31]
	s_branch .LBB29_11
.LBB29_14:                              ;   in Loop: Header=BB29_6 Depth=2
	s_andn2_b64 vcc, exec, s[36:37]
	s_mov_b64 s[8:9], -1
	s_cbranch_vccnz .LBB29_21
; %bb.15:                               ;   in Loop: Header=BB29_6 Depth=2
	s_andn2_b64 vcc, exec, s[8:9]
	s_cbranch_vccz .LBB29_22
.LBB29_16:                              ;   in Loop: Header=BB29_6 Depth=2
	s_cmp_lg_u32 s16, s0
	s_mov_b64 s[34:35], -1
	s_cbranch_scc0 .LBB29_23
.LBB29_17:                              ;   in Loop: Header=BB29_6 Depth=2
	s_lshl_b64 s[8:9], s[16:17], 3
	s_add_u32 s30, s56, s8
	s_addc_u32 s31, s57, s9
	global_load_dwordx2 v[6:7], v2, s[30:31]
	s_cmp_lt_i32 s0, s16
	s_cselect_b64 s[8:9], -1, 0
	s_cmp_ge_i32 s0, s16
	s_waitcnt vmcnt(0)
	v_and_b32_e32 v5, 0x7fffffff, v7
	v_mov_b32_e32 v4, v6
	s_cbranch_scc1 .LBB29_20
; %bb.18:                               ;   in Loop: Header=BB29_6 Depth=2
	s_add_u32 s36, s68, s28
	s_addc_u32 s37, s69, s29
	s_add_u32 s38, s64, s28
	s_addc_u32 s39, s65, s29
	s_mov_b32 s1, s0
.LBB29_19:                              ;   Parent Loop BB29_4 Depth=1
                                        ;     Parent Loop BB29_6 Depth=2
                                        ; =>    This Inner Loop Header: Depth=3
	global_load_dwordx2 v[8:9], v2, s[38:39]
	global_load_dwordx2 v[10:11], v2, s[36:37]
	s_add_i32 s1, s1, 1
	s_add_u32 s36, s36, 8
	s_addc_u32 s37, s37, 0
	s_add_u32 s38, s38, 8
	v_max_f64 v[4:5], v[4:5], v[4:5]
	s_addc_u32 s39, s39, 0
	s_cmp_lt_i32 s1, s16
	s_waitcnt vmcnt(1)
	v_max_f64 v[8:9], |v[8:9]|, |v[8:9]|
	s_waitcnt vmcnt(0)
	v_max_f64 v[10:11], |v[10:11]|, |v[10:11]|
	v_max_f64 v[8:9], v[10:11], v[8:9]
	v_max_f64 v[4:5], v[4:5], v[8:9]
	s_cbranch_scc1 .LBB29_19
.LBB29_20:                              ;   in Loop: Header=BB29_6 Depth=2
	v_cmp_eq_f64_e64 s[38:39], 0, v[4:5]
	s_mov_b64 s[36:37], -1
	s_and_b64 vcc, exec, s[38:39]
	s_mov_b32 s76, s0
	s_cbranch_vccz .LBB29_5
	s_branch .LBB29_24
.LBB29_21:                              ;   in Loop: Header=BB29_6 Depth=2
	v_mov_b32_e32 v3, v2
	global_store_dwordx2 v2, v[2:3], s[30:31]
	s_cbranch_execnz .LBB29_16
.LBB29_22:                              ;   in Loop: Header=BB29_6 Depth=2
	s_max_i32 s16, s0, s59
	s_add_i32 s74, s16, 1
	s_cmp_lg_u32 s16, s0
	s_mov_b64 s[34:35], -1
	s_cbranch_scc1 .LBB29_17
.LBB29_23:                              ;   in Loop: Header=BB29_6 Depth=2
                                        ; implicit-def: $sgpr36_sgpr37
                                        ; implicit-def: $sgpr30_sgpr31
                                        ; implicit-def: $vgpr6_vgpr7
                                        ; implicit-def: $sgpr8_sgpr9
                                        ; implicit-def: $vgpr4_vgpr5
	s_mov_b32 s76, s0
	s_cbranch_execz .LBB29_5
.LBB29_24:                              ;   in Loop: Header=BB29_6 Depth=2
	s_cmp_ge_i32 s74, s33
	s_mov_b64 s[36:37], 0
	s_cselect_b64 s[34:35], -1, 0
	s_mov_b32 s76, s0
	s_branch .LBB29_5
.LBB29_25:                              ;   in Loop: Header=BB29_4 Depth=1
	s_mov_b64 s[0:1], -1
	s_and_b64 vcc, exec, s[36:37]
                                        ; implicit-def: $sgpr37
	s_cbranch_vccz .LBB29_3
; %bb.26:                               ;   in Loop: Header=BB29_4 Depth=1
	v_cmp_nlt_f64_e32 vcc, s[18:19], v[4:5]
	s_cbranch_vccz .LBB29_32
; %bb.27:                               ;   in Loop: Header=BB29_4 Depth=1
	v_cmp_gt_f64_e32 vcc, s[22:23], v[4:5]
	s_cbranch_vccz .LBB29_33
; %bb.28:                               ;   in Loop: Header=BB29_4 Depth=1
	v_div_scale_f64 v[8:9], s[0:1], s[22:23], s[22:23], v[4:5]
	v_rcp_f64_e32 v[10:11], v[8:9]
	v_div_scale_f64 v[12:13], vcc, v[4:5], s[22:23], v[4:5]
	s_mov_b64 s[0:1], 0
	v_fma_f64 v[14:15], -v[8:9], v[10:11], 1.0
	v_fmac_f64_e32 v[10:11], v[10:11], v[14:15]
	v_fma_f64 v[14:15], -v[8:9], v[10:11], 1.0
	v_fmac_f64_e32 v[10:11], v[10:11], v[14:15]
	v_mul_f64 v[14:15], v[12:13], v[10:11]
	v_fma_f64 v[8:9], -v[8:9], v[14:15], v[12:13]
	v_div_fmas_f64 v[8:9], v[8:9], v[10:11], v[14:15]
	v_div_fixup_f64 v[8:9], v[8:9], s[22:23], v[4:5]
	s_waitcnt vmcnt(0)
	v_mul_f64 v[10:11], v[6:7], v[8:9]
	s_and_b64 vcc, exec, s[8:9]
	global_store_dwordx2 v2, v[10:11], s[30:31]
	s_cbranch_vccz .LBB29_33
; %bb.29:                               ;   in Loop: Header=BB29_4 Depth=1
	s_add_u32 s0, s68, s28
	s_addc_u32 s1, s69, s29
	s_add_u32 s34, s64, s28
	s_addc_u32 s35, s65, s29
	s_mov_b32 s36, s76
.LBB29_30:                              ;   Parent Loop BB29_4 Depth=1
                                        ; =>  This Inner Loop Header: Depth=2
	global_load_dwordx2 v[10:11], v2, s[0:1]
	s_add_i32 s36, s36, 1
	s_waitcnt vmcnt(0)
	v_mul_f64 v[10:11], v[8:9], v[10:11]
	global_store_dwordx2 v2, v[10:11], s[0:1]
	global_load_dwordx2 v[10:11], v2, s[34:35]
	s_add_u32 s0, s0, 8
	s_addc_u32 s1, s1, 0
	s_waitcnt vmcnt(0)
	v_mul_f64 v[10:11], v[8:9], v[10:11]
	global_store_dwordx2 v2, v[10:11], s[34:35]
	s_add_u32 s34, s34, 8
	s_addc_u32 s35, s35, 0
	s_cmp_lt_i32 s36, s16
	s_cbranch_scc1 .LBB29_30
; %bb.31:                               ;   in Loop: Header=BB29_4 Depth=1
	s_mov_b64 s[0:1], -1
	s_branch .LBB29_38
.LBB29_32:                              ;   in Loop: Header=BB29_4 Depth=1
	s_mov_b64 s[0:1], 0
	s_cbranch_execnz .LBB29_34
	s_branch .LBB29_38
.LBB29_33:                              ;   in Loop: Header=BB29_4 Depth=1
	s_branch .LBB29_38
.LBB29_34:                              ;   in Loop: Header=BB29_4 Depth=1
	v_div_scale_f64 v[8:9], s[34:35], s[18:19], s[18:19], v[4:5]
	v_rcp_f64_e32 v[10:11], v[8:9]
	v_div_scale_f64 v[12:13], vcc, v[4:5], s[18:19], v[4:5]
	v_fma_f64 v[14:15], -v[8:9], v[10:11], 1.0
	v_fmac_f64_e32 v[10:11], v[10:11], v[14:15]
	v_fma_f64 v[14:15], -v[8:9], v[10:11], 1.0
	v_fmac_f64_e32 v[10:11], v[10:11], v[14:15]
	v_mul_f64 v[14:15], v[12:13], v[10:11]
	v_fma_f64 v[8:9], -v[8:9], v[14:15], v[12:13]
	v_div_fmas_f64 v[8:9], v[8:9], v[10:11], v[14:15]
	v_div_fixup_f64 v[8:9], v[8:9], s[18:19], v[4:5]
	s_waitcnt vmcnt(0)
	v_mul_f64 v[6:7], v[6:7], v[8:9]
	s_and_b64 vcc, exec, s[8:9]
	global_store_dwordx2 v2, v[6:7], s[30:31]
	s_cbranch_vccz .LBB29_38
; %bb.35:                               ;   in Loop: Header=BB29_4 Depth=1
	s_add_u32 s0, s68, s28
	s_addc_u32 s1, s69, s29
	s_add_u32 s34, s64, s28
	s_addc_u32 s35, s65, s29
	s_mov_b32 s36, s76
.LBB29_36:                              ;   Parent Loop BB29_4 Depth=1
                                        ; =>  This Inner Loop Header: Depth=2
	global_load_dwordx2 v[6:7], v2, s[0:1]
	s_add_i32 s36, s36, 1
	s_waitcnt vmcnt(0)
	v_mul_f64 v[6:7], v[8:9], v[6:7]
	global_store_dwordx2 v2, v[6:7], s[0:1]
	global_load_dwordx2 v[6:7], v2, s[34:35]
	s_add_u32 s0, s0, 8
	s_addc_u32 s1, s1, 0
	s_waitcnt vmcnt(0)
	v_mul_f64 v[6:7], v[8:9], v[6:7]
	global_store_dwordx2 v2, v[6:7], s[34:35]
	s_add_u32 s34, s34, 8
	s_addc_u32 s35, s35, 0
	s_cmp_ge_i32 s36, s16
	s_cbranch_scc0 .LBB29_36
; %bb.37:                               ;   in Loop: Header=BB29_4 Depth=1
	s_mov_b64 s[0:1], -1
.LBB29_38:                              ;   in Loop: Header=BB29_4 Depth=1
	v_cndmask_b32_e64 v3, 0, 1, s[8:9]
	s_and_b64 vcc, exec, s[0:1]
	v_cmp_ne_u32_e64 s[0:1], 1, v3
	s_cbranch_vccz .LBB29_42
; %bb.39:                               ;   in Loop: Header=BB29_4 Depth=1
	s_and_b64 vcc, exec, s[0:1]
	s_cbranch_vccnz .LBB29_42
; %bb.40:                               ;   in Loop: Header=BB29_4 Depth=1
	s_add_u32 s8, s64, s28
	s_addc_u32 s9, s65, s29
	s_mov_b32 s34, s76
.LBB29_41:                              ;   Parent Loop BB29_4 Depth=1
                                        ; =>  This Inner Loop Header: Depth=2
	global_load_dwordx2 v[6:7], v2, s[8:9]
	s_add_i32 s34, s34, 1
	s_waitcnt vmcnt(0)
	v_mul_f64 v[6:7], v[6:7], v[6:7]
	global_store_dwordx2 v2, v[6:7], s[8:9]
	s_add_u32 s8, s8, 8
	s_addc_u32 s9, s9, 0
	s_cmp_lt_i32 s34, s16
	s_cbranch_scc1 .LBB29_41
.LBB29_42:                              ;   in Loop: Header=BB29_4 Depth=1
	s_lshl_b64 s[2:3], s[2:3], 3
	s_add_u32 s2, s56, s2
	s_addc_u32 s3, s57, s3
	global_load_dwordx2 v[6:7], v2, s[30:31]
	global_load_dwordx2 v[8:9], v2, s[2:3]
	s_mov_b64 s[8:9], -1
                                        ; implicit-def: $sgpr37
	s_waitcnt vmcnt(0)
	v_cmp_lt_f64_e64 s[2:3], |v[6:7]|, |v[8:9]|
	s_and_b64 s[2:3], s[2:3], exec
	s_cselect_b32 s77, s76, s16
	s_cselect_b32 s34, s16, s76
	s_cmp_lt_i32 s75, s58
	s_cselect_b64 s[2:3], -1, 0
	v_cndmask_b32_e64 v3, 0, 1, s[2:3]
	s_cmp_lt_i32 s77, s34
	v_cmp_ne_u32_e64 s[2:3], 1, v3
	s_cbranch_scc0 .LBB29_45
; %bb.43:                               ;   in Loop: Header=BB29_4 Depth=1
	s_andn2_b64 vcc, exec, s[8:9]
	s_cbranch_vccz .LBB29_47
.LBB29_44:                              ;   in Loop: Header=BB29_4 Depth=1
	v_cmp_lt_f64_e32 vcc, s[18:19], v[4:5]
	s_andn2_b64 vcc, exec, vcc
	s_cbranch_vccz .LBB29_145
	s_branch .LBB29_148
.LBB29_45:                              ;   in Loop: Header=BB29_4 Depth=1
	s_and_b64 vcc, exec, s[2:3]
	s_mov_b32 s37, s75
	s_mov_b32 s36, s34
	;; [unrolled: 1-line block ×3, first 2 shown]
	s_cbranch_vccz .LBB29_49
.LBB29_46:                              ;   in Loop: Header=BB29_4 Depth=1
	s_cbranch_execnz .LBB29_44
.LBB29_47:                              ;   in Loop: Header=BB29_4 Depth=1
	s_and_b64 vcc, exec, s[2:3]
	s_cbranch_vccz .LBB29_97
	s_branch .LBB29_144
.LBB29_48:                              ;   in Loop: Header=BB29_49 Depth=2
	s_andn2_b64 vcc, exec, s[38:39]
	s_mov_b32 s36, s43
	s_cbranch_vccz .LBB29_46
.LBB29_49:                              ;   Parent Loop BB29_4 Depth=1
                                        ; =>  This Loop Header: Depth=2
                                        ;       Child Loop BB29_51 Depth 3
                                        ;       Child Loop BB29_63 Depth 3
	s_mov_b32 s37, s17
	s_max_i32 s42, s77, s36
	s_lshl_b64 s[44:45], s[36:37], 3
	s_add_u32 s38, s66, s44
	s_addc_u32 s39, s67, s45
	s_add_u32 s8, s70, s44
	s_addc_u32 s9, s71, s45
	s_mov_b32 s43, s36
	s_branch .LBB29_51
.LBB29_50:                              ;   in Loop: Header=BB29_51 Depth=3
	s_andn2_b64 vcc, exec, s[48:49]
	s_cbranch_vccz .LBB29_53
.LBB29_51:                              ;   Parent Loop BB29_4 Depth=1
                                        ;     Parent Loop BB29_49 Depth=2
                                        ; =>    This Inner Loop Header: Depth=3
	s_mov_b64 s[46:47], -1
	s_mov_b32 s37, s43
	s_cmp_ge_i32 s43, s77
	s_mov_b64 s[48:49], -1
                                        ; implicit-def: $sgpr43
                                        ; implicit-def: $sgpr40_sgpr41
	s_cbranch_scc1 .LBB29_50
; %bb.52:                               ;   in Loop: Header=BB29_51 Depth=3
	global_load_dwordx4 v[6:9], v2, s[8:9] offset:-8
	global_load_dwordx2 v[10:11], v2, s[38:39] offset:8
	s_add_u32 s40, s38, 8
	s_addc_u32 s41, s39, 0
	s_add_i32 s43, s37, 1
	s_add_u32 s8, s8, 8
	s_mov_b64 s[46:47], 0
	s_addc_u32 s9, s9, 0
	s_mov_b64 s[38:39], s[40:41]
	s_waitcnt vmcnt(1)
	v_mul_f64 v[6:7], v[6:7], v[8:9]
	v_mul_f64 v[6:7], v[0:1], |v[6:7]|
	s_waitcnt vmcnt(0)
	v_cmp_le_f64_e64 s[48:49], |v[10:11]|, v[6:7]
	s_branch .LBB29_50
.LBB29_53:                              ;   in Loop: Header=BB29_49 Depth=2
	s_andn2_b64 vcc, exec, s[46:47]
	s_cbranch_vccz .LBB29_55
; %bb.54:                               ;   in Loop: Header=BB29_49 Depth=2
	v_mov_b32_e32 v3, v2
	s_mov_b32 s42, s37
	global_store_dwordx2 v2, v[2:3], s[40:41]
.LBB29_55:                              ;   in Loop: Header=BB29_49 Depth=2
	s_add_i32 s43, s36, 1
	s_cmp_eq_u32 s42, s36
	s_mov_b64 s[38:39], -1
	s_cbranch_scc1 .LBB29_71
; %bb.56:                               ;   in Loop: Header=BB29_49 Depth=2
	s_add_u32 s40, s56, s44
	s_addc_u32 s41, s57, s45
	global_load_dwordx2 v[6:7], v2, s[40:41]
	s_cmp_lg_u32 s42, s43
	s_cbranch_scc0 .LBB29_72
; %bb.57:                               ;   in Loop: Header=BB29_49 Depth=2
	s_mov_b64 s[46:47], 0
	s_cmp_lg_u32 s35, s58
	s_mov_b64 s[8:9], 0
                                        ; implicit-def: $sgpr50
	s_cbranch_scc0 .LBB29_76
; %bb.58:                               ;   in Loop: Header=BB29_49 Depth=2
	s_add_u32 s48, s14, s44
	s_addc_u32 s49, s15, s45
	global_load_dwordx2 v[8:9], v2, s[48:49]
	global_load_dwordx2 v[10:11], v2, s[40:41] offset:8
	s_mov_b32 s43, s17
	s_waitcnt vmcnt(1)
	v_cmp_gt_f64_e32 vcc, s[24:25], v[8:9]
	v_cndmask_b32_e64 v3, 0, 1, vcc
	v_lshlrev_b32_e32 v3, 8, v3
	v_ldexp_f64 v[8:9], v[8:9], v3
	v_rsq_f64_e32 v[12:13], v[8:9]
	s_and_b64 s[8:9], vcc, exec
	s_cselect_b32 s8, 0xffffff80, 0
	v_cmp_class_f64_e32 vcc, v[8:9], v24
	v_mul_f64 v[14:15], v[8:9], v[12:13]
	v_mul_f64 v[12:13], v[12:13], 0.5
	v_fma_f64 v[16:17], -v[12:13], v[14:15], 0.5
	v_fmac_f64_e32 v[14:15], v[14:15], v[16:17]
	v_fmac_f64_e32 v[12:13], v[12:13], v[16:17]
	v_fma_f64 v[16:17], -v[14:15], v[14:15], v[8:9]
	v_fmac_f64_e32 v[14:15], v[16:17], v[12:13]
	v_fma_f64 v[16:17], -v[14:15], v[14:15], v[8:9]
	v_fmac_f64_e32 v[14:15], v[16:17], v[12:13]
	v_ldexp_f64 v[12:13], v[14:15], s8
	v_cndmask_b32_e32 v9, v13, v9, vcc
	v_cndmask_b32_e32 v8, v12, v8, vcc
	s_waitcnt vmcnt(0)
	v_add_f64 v[10:11], v[10:11], -v[6:7]
	v_add_f64 v[12:13], v[8:9], v[8:9]
	v_div_scale_f64 v[14:15], s[8:9], v[12:13], v[12:13], v[10:11]
	v_rcp_f64_e32 v[16:17], v[14:15]
	v_div_scale_f64 v[18:19], vcc, v[10:11], v[12:13], v[10:11]
	v_fma_f64 v[20:21], -v[14:15], v[16:17], 1.0
	v_fmac_f64_e32 v[16:17], v[16:17], v[20:21]
	v_fma_f64 v[20:21], -v[14:15], v[16:17], 1.0
	v_fmac_f64_e32 v[16:17], v[16:17], v[20:21]
	v_mul_f64 v[20:21], v[18:19], v[16:17]
	v_fma_f64 v[14:15], -v[14:15], v[20:21], v[18:19]
	v_div_fmas_f64 v[14:15], v[14:15], v[16:17], v[20:21]
	v_div_fixup_f64 v[10:11], v[14:15], v[12:13], v[10:11]
	v_fma_f64 v[12:13], v[10:11], v[10:11], 1.0
	v_cmp_gt_f64_e32 vcc, s[24:25], v[12:13]
	s_and_b64 s[8:9], vcc, exec
	s_cselect_b32 s37, 0xffffff80, 0
	s_lshl_b64 s[8:9], s[42:43], 3
	s_add_u32 s8, s56, s8
	s_addc_u32 s9, s57, s9
	global_load_dwordx2 v[14:15], v2, s[8:9]
	v_cndmask_b32_e64 v3, 0, 1, vcc
	v_lshlrev_b32_e32 v3, 8, v3
	v_ldexp_f64 v[12:13], v[12:13], v3
	v_rsq_f64_e32 v[16:17], v[12:13]
	v_cmp_class_f64_e32 vcc, v[12:13], v24
	s_cmp_le_i32 s42, s36
	v_mul_f64 v[18:19], v[12:13], v[16:17]
	v_mul_f64 v[16:17], v[16:17], 0.5
	v_fma_f64 v[20:21], -v[16:17], v[18:19], 0.5
	v_fmac_f64_e32 v[18:19], v[18:19], v[20:21]
	v_fmac_f64_e32 v[16:17], v[16:17], v[20:21]
	v_fma_f64 v[20:21], -v[18:19], v[18:19], v[12:13]
	v_fmac_f64_e32 v[18:19], v[20:21], v[16:17]
	v_fma_f64 v[20:21], -v[18:19], v[18:19], v[12:13]
	v_fmac_f64_e32 v[18:19], v[20:21], v[16:17]
	v_ldexp_f64 v[16:17], v[18:19], s37
	v_cndmask_b32_e32 v3, v17, v13, vcc
	v_cndmask_b32_e32 v12, v16, v12, vcc
	v_and_b32_e32 v13, 0x7fffffff, v3
	v_or_b32_e32 v3, 0x80000000, v3
	v_cmp_nle_f64_e32 vcc, 0, v[10:11]
	v_cndmask_b32_e32 v13, v13, v3, vcc
	v_add_f64 v[10:11], v[10:11], v[12:13]
	v_div_scale_f64 v[12:13], s[8:9], v[10:11], v[10:11], v[8:9]
	v_rcp_f64_e32 v[16:17], v[12:13]
	v_div_scale_f64 v[18:19], vcc, v[8:9], v[10:11], v[8:9]
	v_fma_f64 v[20:21], -v[12:13], v[16:17], 1.0
	v_fmac_f64_e32 v[16:17], v[16:17], v[20:21]
	v_fma_f64 v[20:21], -v[12:13], v[16:17], 1.0
	v_fmac_f64_e32 v[16:17], v[16:17], v[20:21]
	v_mul_f64 v[20:21], v[18:19], v[16:17]
	v_fma_f64 v[12:13], -v[12:13], v[20:21], v[18:19]
	v_div_fmas_f64 v[12:13], v[12:13], v[16:17], v[20:21]
	v_div_fixup_f64 v[8:9], v[12:13], v[10:11], v[8:9]
	v_add_f64 v[8:9], v[6:7], -v[8:9]
	v_pk_mov_b32 v[12:13], 0, 0
	s_waitcnt vmcnt(0)
	v_add_f64 v[14:15], v[14:15], -v[8:9]
	v_mul_f64 v[16:17], v[14:15], v[14:15]
	s_cbranch_scc1 .LBB29_75
; %bb.59:                               ;   in Loop: Header=BB29_49 Depth=2
	s_ashr_i32 s43, s42, 31
	s_lshl_b64 s[8:9], s[42:43], 3
	s_add_u32 s50, s60, s8
	s_addc_u32 s51, s61, s9
	global_load_dwordx2 v[10:11], v2, s[50:51]
	s_add_u32 s50, s62, s8
	s_addc_u32 s51, s63, s9
	global_load_dwordx2 v[20:21], v2, s[50:51]
	s_add_u32 s50, s56, s8
	s_addc_u32 s51, s57, s9
	s_waitcnt vmcnt(1)
	v_add_f64 v[12:13], v[16:17], v[10:11]
	v_div_scale_f64 v[18:19], s[8:9], v[12:13], v[12:13], v[16:17]
	v_div_scale_f64 v[26:27], s[8:9], v[12:13], v[12:13], v[10:11]
	v_rcp_f64_e32 v[28:29], v[18:19]
	v_rcp_f64_e32 v[30:31], v[26:27]
	v_div_scale_f64 v[22:23], vcc, v[16:17], v[12:13], v[16:17]
	v_fma_f64 v[36:37], -v[18:19], v[28:29], 1.0
	v_fma_f64 v[38:39], -v[26:27], v[30:31], 1.0
	v_fmac_f64_e32 v[28:29], v[28:29], v[36:37]
	v_fmac_f64_e32 v[30:31], v[30:31], v[38:39]
	v_fma_f64 v[36:37], -v[18:19], v[28:29], 1.0
	v_fma_f64 v[38:39], -v[26:27], v[30:31], 1.0
	v_fmac_f64_e32 v[28:29], v[28:29], v[36:37]
	v_div_scale_f64 v[32:33], s[8:9], v[10:11], v[12:13], v[10:11]
	v_fmac_f64_e32 v[30:31], v[30:31], v[38:39]
	v_mul_f64 v[36:37], v[22:23], v[28:29]
	v_mul_f64 v[38:39], v[32:33], v[30:31]
	v_fma_f64 v[18:19], -v[18:19], v[36:37], v[22:23]
	v_fma_f64 v[22:23], -v[26:27], v[38:39], v[32:33]
	v_div_fmas_f64 v[18:19], v[18:19], v[28:29], v[36:37]
	s_mov_b64 vcc, s[8:9]
	v_div_fixup_f64 v[16:17], v[18:19], v[12:13], v[16:17]
	v_div_fmas_f64 v[18:19], v[22:23], v[30:31], v[38:39]
	v_div_fixup_f64 v[12:13], v[18:19], v[12:13], v[10:11]
	s_waitcnt vmcnt(0)
	v_add_f64 v[34:35], v[20:21], -v[8:9]
	v_mul_f64 v[18:19], v[14:15], v[12:13]
	v_fma_f64 v[18:19], v[16:17], v[34:35], -v[18:19]
	v_cmp_eq_f64_e32 vcc, 0, v[16:17]
	v_add_f64 v[20:21], v[20:21], -v[18:19]
	v_add_f64 v[14:15], v[14:15], v[20:21]
	global_store_dwordx2 v2, v[14:15], s[50:51]
	s_cbranch_vccnz .LBB29_61
; %bb.60:                               ;   in Loop: Header=BB29_49 Depth=2
	v_mul_f64 v[10:11], v[18:19], v[18:19]
	v_div_scale_f64 v[14:15], s[8:9], v[16:17], v[16:17], v[10:11]
	v_rcp_f64_e32 v[20:21], v[14:15]
	v_div_scale_f64 v[22:23], vcc, v[10:11], v[16:17], v[10:11]
	v_fma_f64 v[26:27], -v[14:15], v[20:21], 1.0
	v_fmac_f64_e32 v[20:21], v[20:21], v[26:27]
	v_fma_f64 v[26:27], -v[14:15], v[20:21], 1.0
	v_fmac_f64_e32 v[20:21], v[20:21], v[26:27]
	v_mul_f64 v[26:27], v[22:23], v[20:21]
	v_fma_f64 v[14:15], -v[14:15], v[26:27], v[22:23]
	v_div_fmas_f64 v[14:15], v[14:15], v[20:21], v[26:27]
	v_div_fixup_f64 v[10:11], v[14:15], v[16:17], v[10:11]
.LBB29_61:                              ;   in Loop: Header=BB29_49 Depth=2
	s_add_i32 s8, s42, -1
	s_cmp_le_i32 s8, s36
	s_cbranch_scc1 .LBB29_73
; %bb.62:                               ;   in Loop: Header=BB29_49 Depth=2
	s_add_i32 s8, s42, -2
	s_ashr_i32 s9, s8, 31
	s_lshl_b64 s[8:9], s[8:9], 3
	s_add_u32 s52, s70, s8
	s_addc_u32 s53, s71, s9
	s_add_u32 s8, s72, s8
	s_addc_u32 s9, s73, s9
	s_mov_b32 s37, -1
.LBB29_63:                              ;   Parent Loop BB29_4 Depth=1
                                        ;     Parent Loop BB29_49 Depth=2
                                        ; =>    This Inner Loop Header: Depth=3
	global_load_dwordx2 v[20:21], v2, s[8:9] offset:-8
	s_add_u32 s50, s8, -8
	s_addc_u32 s51, s9, -1
	s_cmp_eq_u32 s37, 0
	s_waitcnt vmcnt(0)
	v_add_f64 v[14:15], v[10:11], v[20:21]
	s_cbranch_scc1 .LBB29_65
; %bb.64:                               ;   in Loop: Header=BB29_63 Depth=3
	v_mul_f64 v[12:13], v[12:13], v[14:15]
	global_store_dwordx2 v2, v[12:13], s[8:9]
.LBB29_65:                              ;   in Loop: Header=BB29_63 Depth=3
	global_load_dwordx2 v[26:27], v2, s[52:53] offset:-8
	v_div_scale_f64 v[12:13], s[8:9], v[14:15], v[14:15], v[10:11]
	v_div_scale_f64 v[28:29], s[8:9], v[14:15], v[14:15], v[20:21]
	v_rcp_f64_e32 v[32:33], v[12:13]
	v_rcp_f64_e32 v[34:35], v[28:29]
	v_div_scale_f64 v[22:23], vcc, v[10:11], v[14:15], v[10:11]
	v_fma_f64 v[36:37], -v[12:13], v[32:33], 1.0
	v_fma_f64 v[38:39], -v[28:29], v[34:35], 1.0
	v_fmac_f64_e32 v[32:33], v[32:33], v[36:37]
	v_fmac_f64_e32 v[34:35], v[34:35], v[38:39]
	v_fma_f64 v[36:37], -v[12:13], v[32:33], 1.0
	v_fma_f64 v[38:39], -v[28:29], v[34:35], 1.0
	v_fmac_f64_e32 v[32:33], v[32:33], v[36:37]
	v_div_scale_f64 v[30:31], s[8:9], v[20:21], v[14:15], v[20:21]
	v_fmac_f64_e32 v[34:35], v[34:35], v[38:39]
	v_mul_f64 v[36:37], v[22:23], v[32:33]
	v_mul_f64 v[38:39], v[30:31], v[34:35]
	v_fma_f64 v[12:13], -v[12:13], v[36:37], v[22:23]
	v_fma_f64 v[28:29], -v[28:29], v[38:39], v[30:31]
	v_div_fmas_f64 v[12:13], v[12:13], v[32:33], v[36:37]
	s_mov_b64 vcc, s[8:9]
	v_div_fixup_f64 v[22:23], v[12:13], v[14:15], v[10:11]
	v_div_fmas_f64 v[10:11], v[28:29], v[34:35], v[38:39]
	v_div_fixup_f64 v[12:13], v[10:11], v[14:15], v[20:21]
	v_mul_f64 v[10:11], v[18:19], v[12:13]
	s_add_u32 s54, s52, -8
	v_cmp_eq_f64_e32 vcc, 0, v[22:23]
	s_addc_u32 s55, s53, -1
	s_and_b64 vcc, exec, vcc
	s_waitcnt vmcnt(0)
	v_add_f64 v[14:15], v[26:27], -v[8:9]
	v_fma_f64 v[14:15], v[22:23], v[14:15], -v[10:11]
	v_add_f64 v[10:11], v[26:27], -v[14:15]
	v_add_f64 v[10:11], v[18:19], v[10:11]
	global_store_dwordx2 v2, v[10:11], s[52:53]
	s_cbranch_vccz .LBB29_70
; %bb.66:                               ;   in Loop: Header=BB29_63 Depth=3
	v_mul_f64 v[10:11], v[16:17], v[20:21]
	s_cbranch_execnz .LBB29_68
.LBB29_67:                              ;   in Loop: Header=BB29_63 Depth=3
	v_mul_f64 v[10:11], v[14:15], v[14:15]
	v_div_scale_f64 v[16:17], s[8:9], v[22:23], v[22:23], v[10:11]
	v_rcp_f64_e32 v[18:19], v[16:17]
	v_div_scale_f64 v[20:21], vcc, v[10:11], v[22:23], v[10:11]
	v_fma_f64 v[26:27], -v[16:17], v[18:19], 1.0
	v_fmac_f64_e32 v[18:19], v[18:19], v[26:27]
	v_fma_f64 v[26:27], -v[16:17], v[18:19], 1.0
	v_fmac_f64_e32 v[18:19], v[18:19], v[26:27]
	v_mul_f64 v[26:27], v[20:21], v[18:19]
	v_fma_f64 v[16:17], -v[16:17], v[26:27], v[20:21]
	v_div_fmas_f64 v[16:17], v[16:17], v[18:19], v[26:27]
	v_div_fixup_f64 v[10:11], v[16:17], v[22:23], v[10:11]
.LBB29_68:                              ;   in Loop: Header=BB29_63 Depth=3
	s_add_i32 s37, s37, -1
	s_add_i32 s8, s42, s37
	s_cmp_le_i32 s8, s36
	s_cbranch_scc1 .LBB29_74
; %bb.69:                               ;   in Loop: Header=BB29_63 Depth=3
	s_mov_b64 s[8:9], s[50:51]
	s_mov_b64 s[52:53], s[54:55]
	v_pk_mov_b32 v[16:17], v[22:23], v[22:23] op_sel:[0,1]
	v_pk_mov_b32 v[18:19], v[14:15], v[14:15] op_sel:[0,1]
	s_branch .LBB29_63
.LBB29_70:                              ;   in Loop: Header=BB29_63 Depth=3
                                        ; implicit-def: $vgpr10_vgpr11
	s_branch .LBB29_67
.LBB29_71:                              ;   in Loop: Header=BB29_49 Depth=2
                                        ; implicit-def: $sgpr37
	s_cbranch_execz .LBB29_48
	s_branch .LBB29_95
.LBB29_72:                              ;   in Loop: Header=BB29_49 Depth=2
	s_mov_b64 s[8:9], 0
                                        ; implicit-def: $sgpr37
                                        ; implicit-def: $sgpr43
                                        ; implicit-def: $sgpr50
	s_cbranch_execnz .LBB29_77
	s_branch .LBB29_94
.LBB29_73:                              ;   in Loop: Header=BB29_49 Depth=2
	v_pk_mov_b32 v[14:15], v[18:19], v[18:19] op_sel:[0,1]
.LBB29_74:                              ;   in Loop: Header=BB29_49 Depth=2
	v_pk_mov_b32 v[16:17], v[10:11], v[10:11] op_sel:[0,1]
.LBB29_75:                              ;   in Loop: Header=BB29_49 Depth=2
	v_mul_f64 v[10:11], v[12:13], v[16:17]
	v_add_f64 v[8:9], v[8:9], v[14:15]
	s_add_i32 s50, s35, 1
	global_store_dwordx2 v2, v[10:11], s[48:49]
	global_store_dwordx2 v2, v[8:9], s[40:41]
	s_mov_b64 s[8:9], -1
.LBB29_76:                              ;   in Loop: Header=BB29_49 Depth=2
	s_mov_b32 s37, s58
	s_mov_b32 s43, s36
	s_and_b64 vcc, exec, s[46:47]
	s_cbranch_vccz .LBB29_94
.LBB29_77:                              ;   in Loop: Header=BB29_49 Depth=2
	s_add_u32 s8, s14, s44
	s_addc_u32 s9, s15, s45
	global_load_dwordx2 v[8:9], v2, s[8:9]
	s_mov_b32 s43, s17
	s_waitcnt vmcnt(0)
	v_cmp_gt_f64_e32 vcc, s[24:25], v[8:9]
	s_and_b64 s[44:45], vcc, exec
	s_cselect_b32 s37, 0xffffff80, 0
	s_lshl_b64 s[42:43], s[42:43], 3
	s_add_u32 s42, s56, s42
	s_addc_u32 s43, s57, s43
	global_load_dwordx2 v[10:11], v2, s[42:43]
	v_cndmask_b32_e64 v3, 0, 1, vcc
	v_lshlrev_b32_e32 v3, 8, v3
	v_ldexp_f64 v[8:9], v[8:9], v3
	v_rsq_f64_e32 v[12:13], v[8:9]
	v_cmp_class_f64_e32 vcc, v[8:9], v24
	v_mul_f64 v[14:15], v[8:9], v[12:13]
	v_mul_f64 v[12:13], v[12:13], 0.5
	v_fma_f64 v[16:17], -v[12:13], v[14:15], 0.5
	v_fmac_f64_e32 v[14:15], v[14:15], v[16:17]
	v_fmac_f64_e32 v[12:13], v[12:13], v[16:17]
	v_fma_f64 v[16:17], -v[14:15], v[14:15], v[8:9]
	v_fmac_f64_e32 v[14:15], v[16:17], v[12:13]
	v_fma_f64 v[16:17], -v[14:15], v[14:15], v[8:9]
	v_fmac_f64_e32 v[14:15], v[16:17], v[12:13]
	v_ldexp_f64 v[12:13], v[14:15], s37
	v_cndmask_b32_e32 v9, v13, v9, vcc
	v_cndmask_b32_e32 v8, v12, v8, vcc
	v_add_f64 v[16:17], v[8:9], v[8:9]
	s_waitcnt vmcnt(0)
	v_add_f64 v[14:15], v[6:7], -v[10:11]
	v_cmp_ngt_f64_e64 s[44:45], |v[14:15]|, |v[16:17]|
	s_and_b64 vcc, exec, s[44:45]
	s_cbranch_vccz .LBB29_80
; %bb.78:                               ;   in Loop: Header=BB29_49 Depth=2
	v_cmp_nlt_f64_e64 s[44:45], |v[14:15]|, |v[16:17]|
	s_and_b64 vcc, exec, s[44:45]
	s_cbranch_vccz .LBB29_81
; %bb.79:                               ;   in Loop: Header=BB29_49 Depth=2
	v_mul_f64 v[12:13], |v[16:17]|, s[26:27]
	s_cbranch_execz .LBB29_82
	s_branch .LBB29_83
.LBB29_80:                              ;   in Loop: Header=BB29_49 Depth=2
                                        ; implicit-def: $vgpr12_vgpr13
	s_branch .LBB29_84
.LBB29_81:                              ;   in Loop: Header=BB29_49 Depth=2
                                        ; implicit-def: $vgpr12_vgpr13
.LBB29_82:                              ;   in Loop: Header=BB29_49 Depth=2
	v_and_b32_e32 v13, 0x7fffffff, v15
	v_mov_b32_e32 v12, v14
	v_and_b32_e32 v19, 0x7fffffff, v17
	v_mov_b32_e32 v18, v16
	v_div_scale_f64 v[20:21], s[44:45], v[18:19], v[18:19], v[12:13]
	v_rcp_f64_e32 v[22:23], v[20:21]
	v_div_scale_f64 v[12:13], vcc, v[12:13], v[18:19], v[12:13]
	v_fma_f64 v[26:27], -v[20:21], v[22:23], 1.0
	v_fmac_f64_e32 v[22:23], v[22:23], v[26:27]
	v_fma_f64 v[26:27], -v[20:21], v[22:23], 1.0
	v_fmac_f64_e32 v[22:23], v[22:23], v[26:27]
	v_mul_f64 v[18:19], v[12:13], v[22:23]
	v_fma_f64 v[12:13], -v[20:21], v[18:19], v[12:13]
	v_div_fmas_f64 v[12:13], v[12:13], v[22:23], v[18:19]
	v_div_fixup_f64 v[12:13], v[12:13], |v[16:17]|, |v[14:15]|
	v_fma_f64 v[12:13], v[12:13], v[12:13], 1.0
	v_cmp_gt_f64_e32 vcc, s[24:25], v[12:13]
	v_cndmask_b32_e64 v3, 0, 1, vcc
	v_lshlrev_b32_e32 v3, 8, v3
	v_ldexp_f64 v[12:13], v[12:13], v3
	v_rsq_f64_e32 v[18:19], v[12:13]
	s_and_b64 s[44:45], vcc, exec
	s_cselect_b32 s37, 0xffffff80, 0
	v_cmp_class_f64_e32 vcc, v[12:13], v24
	v_mul_f64 v[20:21], v[12:13], v[18:19]
	v_mul_f64 v[18:19], v[18:19], 0.5
	v_fma_f64 v[22:23], -v[18:19], v[20:21], 0.5
	v_fmac_f64_e32 v[20:21], v[20:21], v[22:23]
	v_fma_f64 v[26:27], -v[20:21], v[20:21], v[12:13]
	v_fmac_f64_e32 v[18:19], v[18:19], v[22:23]
	v_fmac_f64_e32 v[20:21], v[26:27], v[18:19]
	v_fma_f64 v[22:23], -v[20:21], v[20:21], v[12:13]
	v_fmac_f64_e32 v[20:21], v[22:23], v[18:19]
	v_ldexp_f64 v[18:19], v[20:21], s37
	v_cndmask_b32_e32 v13, v19, v13, vcc
	v_cndmask_b32_e32 v12, v18, v12, vcc
	v_mul_f64 v[12:13], |v[16:17]|, v[12:13]
.LBB29_83:                              ;   in Loop: Header=BB29_49 Depth=2
	s_cbranch_execnz .LBB29_85
.LBB29_84:                              ;   in Loop: Header=BB29_49 Depth=2
	v_and_b32_e32 v13, 0x7fffffff, v17
	v_mov_b32_e32 v12, v16
	v_and_b32_e32 v19, 0x7fffffff, v15
	v_mov_b32_e32 v18, v14
	v_div_scale_f64 v[20:21], s[44:45], v[18:19], v[18:19], v[12:13]
	v_rcp_f64_e32 v[22:23], v[20:21]
	v_div_scale_f64 v[12:13], vcc, v[12:13], v[18:19], v[12:13]
	v_fma_f64 v[26:27], -v[20:21], v[22:23], 1.0
	v_fmac_f64_e32 v[22:23], v[22:23], v[26:27]
	v_fma_f64 v[26:27], -v[20:21], v[22:23], 1.0
	v_fmac_f64_e32 v[22:23], v[22:23], v[26:27]
	v_mul_f64 v[18:19], v[12:13], v[22:23]
	v_fma_f64 v[12:13], -v[20:21], v[18:19], v[12:13]
	v_div_fmas_f64 v[12:13], v[12:13], v[22:23], v[18:19]
	v_div_fixup_f64 v[12:13], v[12:13], |v[14:15]|, |v[16:17]|
	v_fma_f64 v[12:13], v[12:13], v[12:13], 1.0
	v_cmp_gt_f64_e32 vcc, s[24:25], v[12:13]
	v_cndmask_b32_e64 v3, 0, 1, vcc
	v_lshlrev_b32_e32 v3, 8, v3
	v_ldexp_f64 v[12:13], v[12:13], v3
	v_rsq_f64_e32 v[16:17], v[12:13]
	s_and_b64 s[44:45], vcc, exec
	s_cselect_b32 s37, 0xffffff80, 0
	v_cmp_class_f64_e32 vcc, v[12:13], v24
	v_mul_f64 v[18:19], v[12:13], v[16:17]
	v_mul_f64 v[16:17], v[16:17], 0.5
	v_fma_f64 v[20:21], -v[16:17], v[18:19], 0.5
	v_fmac_f64_e32 v[18:19], v[18:19], v[20:21]
	v_fma_f64 v[22:23], -v[18:19], v[18:19], v[12:13]
	v_fmac_f64_e32 v[16:17], v[16:17], v[20:21]
	v_fmac_f64_e32 v[18:19], v[22:23], v[16:17]
	v_fma_f64 v[20:21], -v[18:19], v[18:19], v[12:13]
	v_fmac_f64_e32 v[18:19], v[20:21], v[16:17]
	v_ldexp_f64 v[16:17], v[18:19], s37
	v_cndmask_b32_e32 v13, v17, v13, vcc
	v_cndmask_b32_e32 v12, v16, v12, vcc
	v_mul_f64 v[12:13], |v[14:15]|, v[12:13]
.LBB29_85:                              ;   in Loop: Header=BB29_49 Depth=2
	v_add_f64 v[16:17], v[6:7], v[10:11]
	v_cmp_gt_f64_e64 vcc, |v[6:7]|, |v[10:11]|
	v_cndmask_b32_e32 v15, v7, v11, vcc
	v_cndmask_b32_e32 v14, v6, v10, vcc
	;; [unrolled: 1-line block ×4, first 2 shown]
	v_cmp_ngt_f64_e32 vcc, 0, v[16:17]
	s_cbranch_vccz .LBB29_88
; %bb.86:                               ;   in Loop: Header=BB29_49 Depth=2
	v_cmp_nlt_f64_e32 vcc, 0, v[16:17]
	s_cbranch_vccz .LBB29_89
; %bb.87:                               ;   in Loop: Header=BB29_49 Depth=2
	v_mul_f64 v[10:11], v[12:13], 0.5
	v_mul_f64 v[18:19], v[12:13], -0.5
	s_cbranch_execz .LBB29_90
	s_branch .LBB29_91
.LBB29_88:                              ;   in Loop: Header=BB29_49 Depth=2
                                        ; implicit-def: $vgpr18_vgpr19
                                        ; implicit-def: $vgpr10_vgpr11
	s_branch .LBB29_92
.LBB29_89:                              ;   in Loop: Header=BB29_49 Depth=2
                                        ; implicit-def: $vgpr18_vgpr19
                                        ; implicit-def: $vgpr10_vgpr11
.LBB29_90:                              ;   in Loop: Header=BB29_49 Depth=2
	v_add_f64 v[10:11], v[16:17], v[12:13]
	v_mul_f64 v[10:11], v[10:11], 0.5
	v_div_scale_f64 v[18:19], s[44:45], v[10:11], v[10:11], v[6:7]
	v_rcp_f64_e32 v[20:21], v[18:19]
	v_div_scale_f64 v[22:23], vcc, v[6:7], v[10:11], v[6:7]
	v_fma_f64 v[26:27], -v[18:19], v[20:21], 1.0
	v_fmac_f64_e32 v[20:21], v[20:21], v[26:27]
	v_fma_f64 v[26:27], -v[18:19], v[20:21], 1.0
	v_fmac_f64_e32 v[20:21], v[20:21], v[26:27]
	v_mul_f64 v[26:27], v[22:23], v[20:21]
	v_fma_f64 v[18:19], -v[18:19], v[26:27], v[22:23]
	v_div_scale_f64 v[22:23], s[44:45], v[10:11], v[10:11], v[8:9]
	v_rcp_f64_e32 v[28:29], v[22:23]
	v_div_fmas_f64 v[18:19], v[18:19], v[20:21], v[26:27]
	v_div_fixup_f64 v[18:19], v[18:19], v[10:11], v[6:7]
	v_fma_f64 v[20:21], -v[22:23], v[28:29], 1.0
	v_fmac_f64_e32 v[28:29], v[28:29], v[20:21]
	v_fma_f64 v[20:21], -v[22:23], v[28:29], 1.0
	v_fmac_f64_e32 v[28:29], v[28:29], v[20:21]
	v_div_scale_f64 v[20:21], vcc, v[8:9], v[10:11], v[8:9]
	v_mul_f64 v[26:27], v[20:21], v[28:29]
	v_fma_f64 v[20:21], -v[22:23], v[26:27], v[20:21]
	s_nop 1
	v_div_fmas_f64 v[20:21], v[20:21], v[28:29], v[26:27]
	v_div_fixup_f64 v[20:21], v[20:21], v[10:11], v[8:9]
	v_mul_f64 v[20:21], v[8:9], v[20:21]
	v_fma_f64 v[18:19], v[14:15], v[18:19], -v[20:21]
.LBB29_91:                              ;   in Loop: Header=BB29_49 Depth=2
	s_cbranch_execnz .LBB29_93
.LBB29_92:                              ;   in Loop: Header=BB29_49 Depth=2
	v_add_f64 v[10:11], v[16:17], -v[12:13]
	v_mul_f64 v[10:11], v[10:11], 0.5
	v_div_scale_f64 v[12:13], s[44:45], v[10:11], v[10:11], v[6:7]
	v_rcp_f64_e32 v[16:17], v[12:13]
	v_div_scale_f64 v[18:19], vcc, v[6:7], v[10:11], v[6:7]
	v_fma_f64 v[20:21], -v[12:13], v[16:17], 1.0
	v_fmac_f64_e32 v[16:17], v[16:17], v[20:21]
	v_fma_f64 v[20:21], -v[12:13], v[16:17], 1.0
	v_fmac_f64_e32 v[16:17], v[16:17], v[20:21]
	v_mul_f64 v[20:21], v[18:19], v[16:17]
	v_fma_f64 v[12:13], -v[12:13], v[20:21], v[18:19]
	v_div_scale_f64 v[18:19], s[44:45], v[10:11], v[10:11], v[8:9]
	v_rcp_f64_e32 v[22:23], v[18:19]
	v_div_fmas_f64 v[12:13], v[12:13], v[16:17], v[20:21]
	v_div_fixup_f64 v[6:7], v[12:13], v[10:11], v[6:7]
	v_fma_f64 v[12:13], -v[18:19], v[22:23], 1.0
	v_fmac_f64_e32 v[22:23], v[22:23], v[12:13]
	v_fma_f64 v[12:13], -v[18:19], v[22:23], 1.0
	v_fmac_f64_e32 v[22:23], v[22:23], v[12:13]
	v_div_scale_f64 v[12:13], vcc, v[8:9], v[10:11], v[8:9]
	v_mul_f64 v[16:17], v[12:13], v[22:23]
	v_fma_f64 v[12:13], -v[18:19], v[16:17], v[12:13]
	s_nop 1
	v_div_fmas_f64 v[12:13], v[12:13], v[22:23], v[16:17]
	v_div_fixup_f64 v[12:13], v[12:13], v[10:11], v[8:9]
	v_mul_f64 v[8:9], v[8:9], v[12:13]
	v_fma_f64 v[18:19], v[14:15], v[6:7], -v[8:9]
.LBB29_93:                              ;   in Loop: Header=BB29_49 Depth=2
	v_mov_b32_e32 v3, v2
	global_store_dwordx2 v2, v[10:11], s[40:41]
	global_store_dwordx2 v2, v[18:19], s[42:43]
	;; [unrolled: 1-line block ×3, first 2 shown]
	s_add_i32 s43, s36, 2
	s_mov_b64 s[8:9], -1
	s_mov_b32 s50, s35
                                        ; implicit-def: $sgpr37
.LBB29_94:                              ;   in Loop: Header=BB29_49 Depth=2
	s_mov_b32 s35, s50
	s_and_b64 vcc, exec, s[8:9]
	s_cbranch_vccz .LBB29_48
.LBB29_95:                              ;   in Loop: Header=BB29_49 Depth=2
	s_cmp_gt_i32 s43, s77
	s_cselect_b64 s[8:9], -1, 0
	s_cmp_ge_i32 s35, s58
	s_cselect_b64 s[36:37], -1, 0
	s_or_b64 s[38:39], s[8:9], s[36:37]
	s_mov_b32 s37, s35
	s_branch .LBB29_48
.LBB29_96:                              ;   in Loop: Header=BB29_97 Depth=2
	s_andn2_b64 vcc, exec, s[8:9]
	s_mov_b32 s34, s35
	s_cbranch_vccz .LBB29_143
.LBB29_97:                              ;   Parent Loop BB29_4 Depth=1
                                        ; =>  This Loop Header: Depth=2
                                        ;       Child Loop BB29_99 Depth 3
                                        ;       Child Loop BB29_112 Depth 3
	s_ashr_i32 s35, s34, 31
	s_min_i32 s38, s77, s34
	s_lshl_b64 s[2:3], s[34:35], 3
	s_add_u32 s36, s68, s2
	s_addc_u32 s37, s69, s3
	s_add_u32 s8, s72, s2
	s_addc_u32 s9, s73, s3
	s_mov_b32 s39, s34
	s_branch .LBB29_99
.LBB29_98:                              ;   in Loop: Header=BB29_99 Depth=3
	s_andn2_b64 vcc, exec, s[42:43]
	s_cbranch_vccz .LBB29_101
.LBB29_99:                              ;   Parent Loop BB29_4 Depth=1
                                        ;     Parent Loop BB29_97 Depth=2
                                        ; =>    This Inner Loop Header: Depth=3
	s_mov_b64 s[40:41], -1
	s_mov_b32 s35, s39
	s_cmp_le_i32 s39, s77
	s_mov_b64 s[42:43], -1
                                        ; implicit-def: $sgpr39
	s_cbranch_scc1 .LBB29_98
; %bb.100:                              ;   in Loop: Header=BB29_99 Depth=3
	global_load_dwordx4 v[6:9], v2, s[36:37] offset:-8
	global_load_dwordx2 v[10:11], v2, s[8:9] offset:-16
	s_add_i32 s39, s35, -1
	s_add_u32 s36, s36, -8
	s_addc_u32 s37, s37, -1
	s_add_u32 s8, s8, -8
	s_mov_b64 s[40:41], 0
	s_addc_u32 s9, s9, -1
	s_waitcnt vmcnt(1)
	v_mul_f64 v[6:7], v[8:9], v[6:7]
	v_mul_f64 v[6:7], v[0:1], |v[6:7]|
	s_waitcnt vmcnt(0)
	v_cmp_le_f64_e64 s[42:43], |v[10:11]|, v[6:7]
	s_branch .LBB29_98
.LBB29_101:                             ;   in Loop: Header=BB29_97 Depth=2
	s_andn2_b64 vcc, exec, s[40:41]
	s_cbranch_vccz .LBB29_103
; %bb.102:                              ;   in Loop: Header=BB29_97 Depth=2
	v_mov_b32_e32 v3, v2
	s_mov_b32 s38, s35
	global_store_dwordx2 v2, v[2:3], s[8:9] offset:-8
.LBB29_103:                             ;   in Loop: Header=BB29_97 Depth=2
	s_add_i32 s35, s34, -1
	s_cmp_eq_u32 s38, s34
	s_mov_b64 s[8:9], -1
	s_cbranch_scc1 .LBB29_118
; %bb.104:                              ;   in Loop: Header=BB29_97 Depth=2
	s_add_u32 s36, s56, s2
	s_addc_u32 s37, s57, s3
	global_load_dwordx2 v[6:7], v2, s[36:37]
	s_cmp_lg_u32 s38, s35
	s_cbranch_scc0 .LBB29_119
; %bb.105:                              ;   in Loop: Header=BB29_97 Depth=2
	s_mov_b64 s[40:41], 0
	s_cmp_lg_u32 s75, s58
	s_mov_b64 s[42:43], 0
                                        ; implicit-def: $sgpr39
	s_cbranch_scc0 .LBB29_123
; %bb.106:                              ;   in Loop: Header=BB29_97 Depth=2
	s_add_u32 s42, s60, s2
	s_addc_u32 s43, s61, s3
	global_load_dwordx2 v[8:9], v2, s[42:43]
	global_load_dwordx2 v[10:11], v2, s[36:37] offset:-8
	s_waitcnt vmcnt(1)
	v_cmp_gt_f64_e32 vcc, s[24:25], v[8:9]
	v_cndmask_b32_e64 v3, 0, 1, vcc
	v_lshlrev_b32_e32 v3, 8, v3
	v_ldexp_f64 v[8:9], v[8:9], v3
	v_rsq_f64_e32 v[12:13], v[8:9]
	s_and_b64 s[2:3], vcc, exec
	s_cselect_b32 s2, 0xffffff80, 0
	v_cmp_class_f64_e32 vcc, v[8:9], v24
	v_mul_f64 v[14:15], v[8:9], v[12:13]
	v_mul_f64 v[12:13], v[12:13], 0.5
	v_fma_f64 v[16:17], -v[12:13], v[14:15], 0.5
	v_fmac_f64_e32 v[14:15], v[14:15], v[16:17]
	v_fmac_f64_e32 v[12:13], v[12:13], v[16:17]
	v_fma_f64 v[16:17], -v[14:15], v[14:15], v[8:9]
	v_fmac_f64_e32 v[14:15], v[16:17], v[12:13]
	v_fma_f64 v[16:17], -v[14:15], v[14:15], v[8:9]
	v_fmac_f64_e32 v[14:15], v[16:17], v[12:13]
	v_ldexp_f64 v[12:13], v[14:15], s2
	v_cndmask_b32_e32 v9, v13, v9, vcc
	v_cndmask_b32_e32 v8, v12, v8, vcc
	s_waitcnt vmcnt(0)
	v_add_f64 v[10:11], v[10:11], -v[6:7]
	v_add_f64 v[12:13], v[8:9], v[8:9]
	v_div_scale_f64 v[14:15], s[2:3], v[12:13], v[12:13], v[10:11]
	v_rcp_f64_e32 v[16:17], v[14:15]
	v_div_scale_f64 v[18:19], vcc, v[10:11], v[12:13], v[10:11]
	v_fma_f64 v[20:21], -v[14:15], v[16:17], 1.0
	v_fmac_f64_e32 v[16:17], v[16:17], v[20:21]
	v_fma_f64 v[20:21], -v[14:15], v[16:17], 1.0
	v_fmac_f64_e32 v[16:17], v[16:17], v[20:21]
	v_mul_f64 v[20:21], v[18:19], v[16:17]
	v_fma_f64 v[14:15], -v[14:15], v[20:21], v[18:19]
	v_div_fmas_f64 v[14:15], v[14:15], v[16:17], v[20:21]
	v_div_fixup_f64 v[10:11], v[14:15], v[12:13], v[10:11]
	v_fma_f64 v[12:13], v[10:11], v[10:11], 1.0
	v_cmp_gt_f64_e32 vcc, s[24:25], v[12:13]
	s_and_b64 s[2:3], vcc, exec
	s_cselect_b32 s35, 0xffffff80, 0
	s_ashr_i32 s39, s38, 31
	s_lshl_b64 s[2:3], s[38:39], 3
	s_add_u32 s44, s56, s2
	s_addc_u32 s45, s57, s3
	global_load_dwordx2 v[14:15], v2, s[44:45]
	v_cndmask_b32_e64 v3, 0, 1, vcc
	v_lshlrev_b32_e32 v3, 8, v3
	v_ldexp_f64 v[12:13], v[12:13], v3
	v_rsq_f64_e32 v[16:17], v[12:13]
	v_cmp_class_f64_e32 vcc, v[12:13], v24
	s_cmp_ge_i32 s38, s34
	v_mul_f64 v[18:19], v[12:13], v[16:17]
	v_mul_f64 v[16:17], v[16:17], 0.5
	v_fma_f64 v[20:21], -v[16:17], v[18:19], 0.5
	v_fmac_f64_e32 v[18:19], v[18:19], v[20:21]
	v_fmac_f64_e32 v[16:17], v[16:17], v[20:21]
	v_fma_f64 v[20:21], -v[18:19], v[18:19], v[12:13]
	v_fmac_f64_e32 v[18:19], v[20:21], v[16:17]
	v_fma_f64 v[20:21], -v[18:19], v[18:19], v[12:13]
	v_fmac_f64_e32 v[18:19], v[20:21], v[16:17]
	v_ldexp_f64 v[16:17], v[18:19], s35
	v_cndmask_b32_e32 v3, v17, v13, vcc
	v_cndmask_b32_e32 v12, v16, v12, vcc
	v_and_b32_e32 v13, 0x7fffffff, v3
	v_or_b32_e32 v3, 0x80000000, v3
	v_cmp_nle_f64_e32 vcc, 0, v[10:11]
	v_cndmask_b32_e32 v13, v13, v3, vcc
	v_add_f64 v[10:11], v[10:11], v[12:13]
	v_div_scale_f64 v[12:13], s[46:47], v[10:11], v[10:11], v[8:9]
	v_rcp_f64_e32 v[16:17], v[12:13]
	v_div_scale_f64 v[18:19], vcc, v[8:9], v[10:11], v[8:9]
	v_fma_f64 v[20:21], -v[12:13], v[16:17], 1.0
	v_fmac_f64_e32 v[16:17], v[16:17], v[20:21]
	v_fma_f64 v[20:21], -v[12:13], v[16:17], 1.0
	v_fmac_f64_e32 v[16:17], v[16:17], v[20:21]
	v_mul_f64 v[20:21], v[18:19], v[16:17]
	v_fma_f64 v[12:13], -v[12:13], v[20:21], v[18:19]
	v_div_fmas_f64 v[12:13], v[12:13], v[16:17], v[20:21]
	v_div_fixup_f64 v[8:9], v[12:13], v[10:11], v[8:9]
	v_add_f64 v[8:9], v[6:7], -v[8:9]
	v_pk_mov_b32 v[12:13], 0, 0
	s_waitcnt vmcnt(0)
	v_add_f64 v[14:15], v[14:15], -v[8:9]
	v_mul_f64 v[16:17], v[14:15], v[14:15]
	s_cbranch_scc1 .LBB29_122
; %bb.107:                              ;   in Loop: Header=BB29_97 Depth=2
	s_add_u32 s2, s14, s2
	s_addc_u32 s3, s15, s3
	global_load_dwordx2 v[10:11], v2, s[2:3]
	global_load_dwordx2 v[20:21], v2, s[44:45] offset:8
	s_waitcnt vmcnt(1)
	v_add_f64 v[12:13], v[16:17], v[10:11]
	v_div_scale_f64 v[22:23], s[2:3], v[12:13], v[12:13], v[16:17]
	v_div_scale_f64 v[28:29], s[2:3], v[12:13], v[12:13], v[10:11]
	v_rcp_f64_e32 v[30:31], v[22:23]
	v_rcp_f64_e32 v[32:33], v[28:29]
	v_div_scale_f64 v[26:27], vcc, v[16:17], v[12:13], v[16:17]
	v_fma_f64 v[36:37], -v[22:23], v[30:31], 1.0
	v_fma_f64 v[38:39], -v[28:29], v[32:33], 1.0
	v_fmac_f64_e32 v[30:31], v[30:31], v[36:37]
	v_fmac_f64_e32 v[32:33], v[32:33], v[38:39]
	v_fma_f64 v[36:37], -v[22:23], v[30:31], 1.0
	v_fma_f64 v[38:39], -v[28:29], v[32:33], 1.0
	v_fmac_f64_e32 v[30:31], v[30:31], v[36:37]
	v_div_scale_f64 v[34:35], s[2:3], v[10:11], v[12:13], v[10:11]
	v_fmac_f64_e32 v[32:33], v[32:33], v[38:39]
	v_mul_f64 v[36:37], v[26:27], v[30:31]
	v_mul_f64 v[38:39], v[34:35], v[32:33]
	v_fma_f64 v[22:23], -v[22:23], v[36:37], v[26:27]
	v_fma_f64 v[26:27], -v[28:29], v[38:39], v[34:35]
	v_div_fmas_f64 v[22:23], v[22:23], v[30:31], v[36:37]
	s_mov_b64 vcc, s[2:3]
	v_div_fixup_f64 v[16:17], v[22:23], v[12:13], v[16:17]
	v_div_fmas_f64 v[22:23], v[26:27], v[32:33], v[38:39]
	v_div_fixup_f64 v[12:13], v[22:23], v[12:13], v[10:11]
	s_waitcnt vmcnt(0)
	v_add_f64 v[18:19], v[20:21], -v[8:9]
	v_mul_f64 v[22:23], v[14:15], v[12:13]
	v_fma_f64 v[18:19], v[16:17], v[18:19], -v[22:23]
	v_cmp_eq_f64_e32 vcc, 0, v[16:17]
	v_add_f64 v[20:21], v[20:21], -v[18:19]
	v_add_f64 v[14:15], v[14:15], v[20:21]
	global_store_dwordx2 v2, v[14:15], s[44:45]
	s_cbranch_vccnz .LBB29_109
; %bb.108:                              ;   in Loop: Header=BB29_97 Depth=2
	v_mul_f64 v[10:11], v[18:19], v[18:19]
	v_div_scale_f64 v[14:15], s[2:3], v[16:17], v[16:17], v[10:11]
	v_rcp_f64_e32 v[20:21], v[14:15]
	v_div_scale_f64 v[22:23], vcc, v[10:11], v[16:17], v[10:11]
	v_fma_f64 v[26:27], -v[14:15], v[20:21], 1.0
	v_fmac_f64_e32 v[20:21], v[20:21], v[26:27]
	v_fma_f64 v[26:27], -v[14:15], v[20:21], 1.0
	v_fmac_f64_e32 v[20:21], v[20:21], v[26:27]
	v_mul_f64 v[26:27], v[22:23], v[20:21]
	v_fma_f64 v[14:15], -v[14:15], v[26:27], v[22:23]
	v_div_fmas_f64 v[14:15], v[14:15], v[20:21], v[26:27]
	v_div_fixup_f64 v[10:11], v[14:15], v[16:17], v[10:11]
.LBB29_109:                             ;   in Loop: Header=BB29_97 Depth=2
	s_add_i32 s2, s38, 1
	s_cmp_ge_i32 s2, s34
	s_cbranch_scc1 .LBB29_120
; %bb.110:                              ;   in Loop: Header=BB29_97 Depth=2
	s_ashr_i32 s3, s2, 31
	s_lshl_b64 s[2:3], s[2:3], 3
	s_add_u32 s44, s64, s2
	s_addc_u32 s45, s65, s3
	s_add_u32 s46, s70, s2
	s_addc_u32 s47, s71, s3
	s_mov_b32 s35, 1
	global_load_dwordx2 v[20:21], v2, s[44:45]
	s_cmp_eq_u32 s35, 0
	s_waitcnt vmcnt(0)
	v_add_f64 v[14:15], v[10:11], v[20:21]
	s_cbranch_scc1 .LBB29_112
.LBB29_111:                             ;   in Loop: Header=BB29_97 Depth=2
	v_mul_f64 v[12:13], v[12:13], v[14:15]
	global_store_dwordx2 v2, v[12:13], s[44:45] offset:-8
.LBB29_112:                             ;   Parent Loop BB29_4 Depth=1
                                        ;     Parent Loop BB29_97 Depth=2
                                        ; =>    This Inner Loop Header: Depth=3
	global_load_dwordx2 v[26:27], v2, s[46:47]
	v_div_scale_f64 v[12:13], s[2:3], v[14:15], v[14:15], v[10:11]
	v_div_scale_f64 v[28:29], s[2:3], v[14:15], v[14:15], v[20:21]
	v_rcp_f64_e32 v[30:31], v[12:13]
	v_rcp_f64_e32 v[32:33], v[28:29]
	v_div_scale_f64 v[22:23], vcc, v[10:11], v[14:15], v[10:11]
	v_fma_f64 v[36:37], -v[12:13], v[30:31], 1.0
	v_fma_f64 v[38:39], -v[28:29], v[32:33], 1.0
	v_fmac_f64_e32 v[30:31], v[30:31], v[36:37]
	v_fmac_f64_e32 v[32:33], v[32:33], v[38:39]
	v_fma_f64 v[36:37], -v[12:13], v[30:31], 1.0
	v_fma_f64 v[38:39], -v[28:29], v[32:33], 1.0
	v_fmac_f64_e32 v[30:31], v[30:31], v[36:37]
	v_div_scale_f64 v[34:35], s[2:3], v[20:21], v[14:15], v[20:21]
	v_fmac_f64_e32 v[32:33], v[32:33], v[38:39]
	v_mul_f64 v[36:37], v[22:23], v[30:31]
	v_mul_f64 v[38:39], v[34:35], v[32:33]
	v_fma_f64 v[12:13], -v[12:13], v[36:37], v[22:23]
	v_fma_f64 v[28:29], -v[28:29], v[38:39], v[34:35]
	v_div_fmas_f64 v[12:13], v[12:13], v[30:31], v[36:37]
	s_mov_b64 vcc, s[2:3]
	v_div_fixup_f64 v[22:23], v[12:13], v[14:15], v[10:11]
	v_div_fmas_f64 v[10:11], v[28:29], v[32:33], v[38:39]
	v_div_fixup_f64 v[12:13], v[10:11], v[14:15], v[20:21]
	v_mul_f64 v[10:11], v[18:19], v[12:13]
	v_cmp_eq_f64_e32 vcc, 0, v[22:23]
	s_and_b64 vcc, exec, vcc
	s_waitcnt vmcnt(0)
	v_add_f64 v[14:15], v[26:27], -v[8:9]
	v_fma_f64 v[14:15], v[22:23], v[14:15], -v[10:11]
	v_add_f64 v[10:11], v[26:27], -v[14:15]
	v_add_f64 v[10:11], v[18:19], v[10:11]
	global_store_dwordx2 v2, v[10:11], s[46:47] offset:-8
	s_cbranch_vccz .LBB29_117
; %bb.113:                              ;   in Loop: Header=BB29_112 Depth=3
	v_mul_f64 v[10:11], v[16:17], v[20:21]
	s_cbranch_execnz .LBB29_115
.LBB29_114:                             ;   in Loop: Header=BB29_112 Depth=3
	v_mul_f64 v[10:11], v[14:15], v[14:15]
	v_div_scale_f64 v[16:17], s[2:3], v[22:23], v[22:23], v[10:11]
	v_rcp_f64_e32 v[18:19], v[16:17]
	v_div_scale_f64 v[20:21], vcc, v[10:11], v[22:23], v[10:11]
	v_fma_f64 v[26:27], -v[16:17], v[18:19], 1.0
	v_fmac_f64_e32 v[18:19], v[18:19], v[26:27]
	v_fma_f64 v[26:27], -v[16:17], v[18:19], 1.0
	v_fmac_f64_e32 v[18:19], v[18:19], v[26:27]
	v_mul_f64 v[26:27], v[20:21], v[18:19]
	v_fma_f64 v[16:17], -v[16:17], v[26:27], v[20:21]
	v_div_fmas_f64 v[16:17], v[16:17], v[18:19], v[26:27]
	v_div_fixup_f64 v[10:11], v[16:17], v[22:23], v[10:11]
.LBB29_115:                             ;   in Loop: Header=BB29_112 Depth=3
	s_add_i32 s35, s35, 1
	s_add_i32 s2, s38, s35
	s_add_u32 s44, s44, 8
	s_addc_u32 s45, s45, 0
	s_add_u32 s46, s46, 8
	s_addc_u32 s47, s47, 0
	s_cmp_ge_i32 s2, s34
	s_cbranch_scc1 .LBB29_121
; %bb.116:                              ;   in Loop: Header=BB29_112 Depth=3
	v_pk_mov_b32 v[16:17], v[22:23], v[22:23] op_sel:[0,1]
	v_pk_mov_b32 v[18:19], v[14:15], v[14:15] op_sel:[0,1]
	global_load_dwordx2 v[20:21], v2, s[44:45]
	s_cmp_eq_u32 s35, 0
	s_waitcnt vmcnt(0)
	v_add_f64 v[14:15], v[10:11], v[20:21]
	s_cbranch_scc0 .LBB29_111
	s_branch .LBB29_112
.LBB29_117:                             ;   in Loop: Header=BB29_112 Depth=3
                                        ; implicit-def: $vgpr10_vgpr11
	s_branch .LBB29_114
.LBB29_118:                             ;   in Loop: Header=BB29_97 Depth=2
                                        ; implicit-def: $sgpr2
	s_cbranch_execz .LBB29_96
	s_branch .LBB29_142
.LBB29_119:                             ;   in Loop: Header=BB29_97 Depth=2
	s_mov_b64 s[42:43], 0
                                        ; implicit-def: $sgpr2
                                        ; implicit-def: $sgpr35
                                        ; implicit-def: $sgpr39
	s_cbranch_execnz .LBB29_124
	s_branch .LBB29_141
.LBB29_120:                             ;   in Loop: Header=BB29_97 Depth=2
	v_pk_mov_b32 v[14:15], v[18:19], v[18:19] op_sel:[0,1]
.LBB29_121:                             ;   in Loop: Header=BB29_97 Depth=2
	v_pk_mov_b32 v[16:17], v[10:11], v[10:11] op_sel:[0,1]
.LBB29_122:                             ;   in Loop: Header=BB29_97 Depth=2
	v_mul_f64 v[10:11], v[16:17], v[12:13]
	v_add_f64 v[8:9], v[8:9], v[14:15]
	s_add_i32 s39, s75, 1
	global_store_dwordx2 v2, v[10:11], s[42:43]
	global_store_dwordx2 v2, v[8:9], s[36:37]
	s_mov_b64 s[42:43], -1
.LBB29_123:                             ;   in Loop: Header=BB29_97 Depth=2
	s_mov_b32 s2, s58
	s_mov_b32 s35, s34
	s_and_b64 vcc, exec, s[40:41]
	s_cbranch_vccz .LBB29_141
.LBB29_124:                             ;   in Loop: Header=BB29_97 Depth=2
	s_ashr_i32 s39, s38, 31
	s_lshl_b64 s[38:39], s[38:39], 3
	s_add_u32 s2, s14, s38
	s_addc_u32 s3, s15, s39
	global_load_dwordx2 v[8:9], v2, s[2:3]
	s_waitcnt vmcnt(0)
	v_cmp_gt_f64_e32 vcc, s[24:25], v[8:9]
	s_and_b64 s[40:41], vcc, exec
	s_cselect_b32 s35, 0xffffff80, 0
	s_add_u32 s38, s56, s38
	s_addc_u32 s39, s57, s39
	global_load_dwordx2 v[10:11], v2, s[38:39]
	v_cndmask_b32_e64 v3, 0, 1, vcc
	v_lshlrev_b32_e32 v3, 8, v3
	v_ldexp_f64 v[8:9], v[8:9], v3
	v_rsq_f64_e32 v[12:13], v[8:9]
	v_cmp_class_f64_e32 vcc, v[8:9], v24
	v_mul_f64 v[14:15], v[8:9], v[12:13]
	v_mul_f64 v[12:13], v[12:13], 0.5
	v_fma_f64 v[16:17], -v[12:13], v[14:15], 0.5
	v_fmac_f64_e32 v[14:15], v[14:15], v[16:17]
	v_fmac_f64_e32 v[12:13], v[12:13], v[16:17]
	v_fma_f64 v[16:17], -v[14:15], v[14:15], v[8:9]
	v_fmac_f64_e32 v[14:15], v[16:17], v[12:13]
	v_fma_f64 v[16:17], -v[14:15], v[14:15], v[8:9]
	v_fmac_f64_e32 v[14:15], v[16:17], v[12:13]
	v_ldexp_f64 v[12:13], v[14:15], s35
	v_cndmask_b32_e32 v9, v13, v9, vcc
	v_cndmask_b32_e32 v8, v12, v8, vcc
	v_add_f64 v[16:17], v[8:9], v[8:9]
	s_waitcnt vmcnt(0)
	v_add_f64 v[14:15], v[6:7], -v[10:11]
	v_cmp_ngt_f64_e64 s[40:41], |v[14:15]|, |v[16:17]|
	s_and_b64 vcc, exec, s[40:41]
	s_cbranch_vccz .LBB29_127
; %bb.125:                              ;   in Loop: Header=BB29_97 Depth=2
	v_cmp_nlt_f64_e64 s[40:41], |v[14:15]|, |v[16:17]|
	s_and_b64 vcc, exec, s[40:41]
	s_cbranch_vccz .LBB29_128
; %bb.126:                              ;   in Loop: Header=BB29_97 Depth=2
	v_mul_f64 v[12:13], |v[16:17]|, s[26:27]
	s_cbranch_execz .LBB29_129
	s_branch .LBB29_130
.LBB29_127:                             ;   in Loop: Header=BB29_97 Depth=2
                                        ; implicit-def: $vgpr12_vgpr13
	s_branch .LBB29_131
.LBB29_128:                             ;   in Loop: Header=BB29_97 Depth=2
                                        ; implicit-def: $vgpr12_vgpr13
.LBB29_129:                             ;   in Loop: Header=BB29_97 Depth=2
	v_and_b32_e32 v13, 0x7fffffff, v15
	v_mov_b32_e32 v12, v14
	v_and_b32_e32 v19, 0x7fffffff, v17
	v_mov_b32_e32 v18, v16
	v_div_scale_f64 v[20:21], s[40:41], v[18:19], v[18:19], v[12:13]
	v_rcp_f64_e32 v[22:23], v[20:21]
	v_div_scale_f64 v[12:13], vcc, v[12:13], v[18:19], v[12:13]
	v_fma_f64 v[26:27], -v[20:21], v[22:23], 1.0
	v_fmac_f64_e32 v[22:23], v[22:23], v[26:27]
	v_fma_f64 v[26:27], -v[20:21], v[22:23], 1.0
	v_fmac_f64_e32 v[22:23], v[22:23], v[26:27]
	v_mul_f64 v[18:19], v[12:13], v[22:23]
	v_fma_f64 v[12:13], -v[20:21], v[18:19], v[12:13]
	v_div_fmas_f64 v[12:13], v[12:13], v[22:23], v[18:19]
	v_div_fixup_f64 v[12:13], v[12:13], |v[16:17]|, |v[14:15]|
	v_fma_f64 v[12:13], v[12:13], v[12:13], 1.0
	v_cmp_gt_f64_e32 vcc, s[24:25], v[12:13]
	v_cndmask_b32_e64 v3, 0, 1, vcc
	v_lshlrev_b32_e32 v3, 8, v3
	v_ldexp_f64 v[12:13], v[12:13], v3
	v_rsq_f64_e32 v[18:19], v[12:13]
	s_and_b64 s[40:41], vcc, exec
	s_cselect_b32 s35, 0xffffff80, 0
	v_cmp_class_f64_e32 vcc, v[12:13], v24
	v_mul_f64 v[20:21], v[12:13], v[18:19]
	v_mul_f64 v[18:19], v[18:19], 0.5
	v_fma_f64 v[22:23], -v[18:19], v[20:21], 0.5
	v_fmac_f64_e32 v[20:21], v[20:21], v[22:23]
	v_fma_f64 v[26:27], -v[20:21], v[20:21], v[12:13]
	v_fmac_f64_e32 v[18:19], v[18:19], v[22:23]
	v_fmac_f64_e32 v[20:21], v[26:27], v[18:19]
	v_fma_f64 v[22:23], -v[20:21], v[20:21], v[12:13]
	v_fmac_f64_e32 v[20:21], v[22:23], v[18:19]
	v_ldexp_f64 v[18:19], v[20:21], s35
	v_cndmask_b32_e32 v13, v19, v13, vcc
	v_cndmask_b32_e32 v12, v18, v12, vcc
	v_mul_f64 v[12:13], |v[16:17]|, v[12:13]
.LBB29_130:                             ;   in Loop: Header=BB29_97 Depth=2
	s_cbranch_execnz .LBB29_132
.LBB29_131:                             ;   in Loop: Header=BB29_97 Depth=2
	v_and_b32_e32 v13, 0x7fffffff, v17
	v_mov_b32_e32 v12, v16
	v_and_b32_e32 v19, 0x7fffffff, v15
	v_mov_b32_e32 v18, v14
	v_div_scale_f64 v[20:21], s[40:41], v[18:19], v[18:19], v[12:13]
	v_rcp_f64_e32 v[22:23], v[20:21]
	v_div_scale_f64 v[12:13], vcc, v[12:13], v[18:19], v[12:13]
	v_fma_f64 v[26:27], -v[20:21], v[22:23], 1.0
	v_fmac_f64_e32 v[22:23], v[22:23], v[26:27]
	v_fma_f64 v[26:27], -v[20:21], v[22:23], 1.0
	v_fmac_f64_e32 v[22:23], v[22:23], v[26:27]
	v_mul_f64 v[18:19], v[12:13], v[22:23]
	v_fma_f64 v[12:13], -v[20:21], v[18:19], v[12:13]
	v_div_fmas_f64 v[12:13], v[12:13], v[22:23], v[18:19]
	v_div_fixup_f64 v[12:13], v[12:13], |v[14:15]|, |v[16:17]|
	v_fma_f64 v[12:13], v[12:13], v[12:13], 1.0
	v_cmp_gt_f64_e32 vcc, s[24:25], v[12:13]
	v_cndmask_b32_e64 v3, 0, 1, vcc
	v_lshlrev_b32_e32 v3, 8, v3
	v_ldexp_f64 v[12:13], v[12:13], v3
	v_rsq_f64_e32 v[16:17], v[12:13]
	s_and_b64 s[40:41], vcc, exec
	s_cselect_b32 s35, 0xffffff80, 0
	v_cmp_class_f64_e32 vcc, v[12:13], v24
	v_mul_f64 v[18:19], v[12:13], v[16:17]
	v_mul_f64 v[16:17], v[16:17], 0.5
	v_fma_f64 v[20:21], -v[16:17], v[18:19], 0.5
	v_fmac_f64_e32 v[18:19], v[18:19], v[20:21]
	v_fma_f64 v[22:23], -v[18:19], v[18:19], v[12:13]
	v_fmac_f64_e32 v[16:17], v[16:17], v[20:21]
	v_fmac_f64_e32 v[18:19], v[22:23], v[16:17]
	v_fma_f64 v[20:21], -v[18:19], v[18:19], v[12:13]
	v_fmac_f64_e32 v[18:19], v[20:21], v[16:17]
	v_ldexp_f64 v[16:17], v[18:19], s35
	v_cndmask_b32_e32 v13, v17, v13, vcc
	v_cndmask_b32_e32 v12, v16, v12, vcc
	v_mul_f64 v[12:13], |v[14:15]|, v[12:13]
.LBB29_132:                             ;   in Loop: Header=BB29_97 Depth=2
	v_add_f64 v[16:17], v[6:7], v[10:11]
	v_cmp_gt_f64_e64 vcc, |v[6:7]|, |v[10:11]|
	v_cndmask_b32_e32 v15, v7, v11, vcc
	v_cndmask_b32_e32 v14, v6, v10, vcc
	;; [unrolled: 1-line block ×4, first 2 shown]
	v_cmp_ngt_f64_e32 vcc, 0, v[16:17]
	s_cbranch_vccz .LBB29_135
; %bb.133:                              ;   in Loop: Header=BB29_97 Depth=2
	v_cmp_nlt_f64_e32 vcc, 0, v[16:17]
	s_cbranch_vccz .LBB29_136
; %bb.134:                              ;   in Loop: Header=BB29_97 Depth=2
	v_mul_f64 v[10:11], v[12:13], 0.5
	v_mul_f64 v[18:19], v[12:13], -0.5
	s_cbranch_execz .LBB29_137
	s_branch .LBB29_138
.LBB29_135:                             ;   in Loop: Header=BB29_97 Depth=2
                                        ; implicit-def: $vgpr18_vgpr19
                                        ; implicit-def: $vgpr10_vgpr11
	s_branch .LBB29_139
.LBB29_136:                             ;   in Loop: Header=BB29_97 Depth=2
                                        ; implicit-def: $vgpr18_vgpr19
                                        ; implicit-def: $vgpr10_vgpr11
.LBB29_137:                             ;   in Loop: Header=BB29_97 Depth=2
	v_add_f64 v[10:11], v[16:17], v[12:13]
	v_mul_f64 v[10:11], v[10:11], 0.5
	v_div_scale_f64 v[18:19], s[40:41], v[10:11], v[10:11], v[6:7]
	v_rcp_f64_e32 v[20:21], v[18:19]
	v_div_scale_f64 v[22:23], vcc, v[6:7], v[10:11], v[6:7]
	v_fma_f64 v[26:27], -v[18:19], v[20:21], 1.0
	v_fmac_f64_e32 v[20:21], v[20:21], v[26:27]
	v_fma_f64 v[26:27], -v[18:19], v[20:21], 1.0
	v_fmac_f64_e32 v[20:21], v[20:21], v[26:27]
	v_mul_f64 v[26:27], v[22:23], v[20:21]
	v_fma_f64 v[18:19], -v[18:19], v[26:27], v[22:23]
	v_div_scale_f64 v[22:23], s[40:41], v[10:11], v[10:11], v[8:9]
	v_rcp_f64_e32 v[28:29], v[22:23]
	v_div_fmas_f64 v[18:19], v[18:19], v[20:21], v[26:27]
	v_div_fixup_f64 v[18:19], v[18:19], v[10:11], v[6:7]
	v_fma_f64 v[20:21], -v[22:23], v[28:29], 1.0
	v_fmac_f64_e32 v[28:29], v[28:29], v[20:21]
	v_fma_f64 v[20:21], -v[22:23], v[28:29], 1.0
	v_fmac_f64_e32 v[28:29], v[28:29], v[20:21]
	v_div_scale_f64 v[20:21], vcc, v[8:9], v[10:11], v[8:9]
	v_mul_f64 v[26:27], v[20:21], v[28:29]
	v_fma_f64 v[20:21], -v[22:23], v[26:27], v[20:21]
	s_nop 1
	v_div_fmas_f64 v[20:21], v[20:21], v[28:29], v[26:27]
	v_div_fixup_f64 v[20:21], v[20:21], v[10:11], v[8:9]
	v_mul_f64 v[20:21], v[8:9], v[20:21]
	v_fma_f64 v[18:19], v[14:15], v[18:19], -v[20:21]
.LBB29_138:                             ;   in Loop: Header=BB29_97 Depth=2
	s_cbranch_execnz .LBB29_140
.LBB29_139:                             ;   in Loop: Header=BB29_97 Depth=2
	v_add_f64 v[10:11], v[16:17], -v[12:13]
	v_mul_f64 v[10:11], v[10:11], 0.5
	v_div_scale_f64 v[12:13], s[40:41], v[10:11], v[10:11], v[6:7]
	v_rcp_f64_e32 v[16:17], v[12:13]
	v_div_scale_f64 v[18:19], vcc, v[6:7], v[10:11], v[6:7]
	v_fma_f64 v[20:21], -v[12:13], v[16:17], 1.0
	v_fmac_f64_e32 v[16:17], v[16:17], v[20:21]
	v_fma_f64 v[20:21], -v[12:13], v[16:17], 1.0
	v_fmac_f64_e32 v[16:17], v[16:17], v[20:21]
	v_mul_f64 v[20:21], v[18:19], v[16:17]
	v_fma_f64 v[12:13], -v[12:13], v[20:21], v[18:19]
	v_div_scale_f64 v[18:19], s[40:41], v[10:11], v[10:11], v[8:9]
	v_rcp_f64_e32 v[22:23], v[18:19]
	v_div_fmas_f64 v[12:13], v[12:13], v[16:17], v[20:21]
	v_div_fixup_f64 v[6:7], v[12:13], v[10:11], v[6:7]
	v_fma_f64 v[12:13], -v[18:19], v[22:23], 1.0
	v_fmac_f64_e32 v[22:23], v[22:23], v[12:13]
	v_fma_f64 v[12:13], -v[18:19], v[22:23], 1.0
	v_fmac_f64_e32 v[22:23], v[22:23], v[12:13]
	v_div_scale_f64 v[12:13], vcc, v[8:9], v[10:11], v[8:9]
	v_mul_f64 v[16:17], v[12:13], v[22:23]
	v_fma_f64 v[12:13], -v[18:19], v[16:17], v[12:13]
	s_nop 1
	v_div_fmas_f64 v[12:13], v[12:13], v[22:23], v[16:17]
	v_div_fixup_f64 v[12:13], v[12:13], v[10:11], v[8:9]
	v_mul_f64 v[8:9], v[8:9], v[12:13]
	v_fma_f64 v[18:19], v[14:15], v[6:7], -v[8:9]
.LBB29_140:                             ;   in Loop: Header=BB29_97 Depth=2
	global_store_dwordx2 v2, v[10:11], s[36:37]
	global_store_dwordx2 v2, v[18:19], s[38:39]
	v_mov_b32_e32 v3, v2
	s_add_i32 s35, s34, -2
	s_mov_b64 s[42:43], -1
	s_mov_b32 s39, s75
	global_store_dwordx2 v2, v[2:3], s[2:3]
                                        ; implicit-def: $sgpr2
.LBB29_141:                             ;   in Loop: Header=BB29_97 Depth=2
	s_mov_b32 s75, s39
	s_and_b64 vcc, exec, s[42:43]
	s_cbranch_vccz .LBB29_96
.LBB29_142:                             ;   in Loop: Header=BB29_97 Depth=2
	s_cmp_lt_i32 s35, s77
	s_cselect_b64 s[2:3], -1, 0
	s_cmp_ge_i32 s75, s58
	s_cselect_b64 s[8:9], -1, 0
	s_or_b64 s[8:9], s[2:3], s[8:9]
	s_mov_b32 s2, s75
	s_branch .LBB29_96
.LBB29_143:                             ;   in Loop: Header=BB29_4 Depth=1
	s_mov_b32 s75, s2
.LBB29_144:                             ;   in Loop: Header=BB29_4 Depth=1
	s_mov_b32 s37, s75
	v_cmp_lt_f64_e32 vcc, s[18:19], v[4:5]
	s_andn2_b64 vcc, exec, vcc
	s_cbranch_vccnz .LBB29_148
.LBB29_145:                             ;   in Loop: Header=BB29_4 Depth=1
	global_load_dwordx2 v[8:9], v2, s[30:31]
	s_waitcnt vmcnt(1)
	v_div_scale_f64 v[6:7], s[2:3], v[4:5], v[4:5], s[18:19]
	v_rcp_f64_e32 v[10:11], v[6:7]
	v_div_scale_f64 v[12:13], vcc, s[18:19], v[4:5], s[18:19]
	v_fma_f64 v[14:15], -v[6:7], v[10:11], 1.0
	v_fmac_f64_e32 v[10:11], v[10:11], v[14:15]
	v_fma_f64 v[14:15], -v[6:7], v[10:11], 1.0
	v_fmac_f64_e32 v[10:11], v[10:11], v[14:15]
	v_mul_f64 v[14:15], v[12:13], v[10:11]
	v_fma_f64 v[6:7], -v[6:7], v[14:15], v[12:13]
	v_div_fmas_f64 v[6:7], v[6:7], v[10:11], v[14:15]
	v_div_fixup_f64 v[6:7], v[6:7], v[4:5], s[18:19]
	s_and_b64 vcc, exec, s[0:1]
	s_waitcnt vmcnt(0)
	v_mul_f64 v[8:9], v[6:7], v[8:9]
	global_store_dwordx2 v2, v[8:9], s[30:31]
	s_cbranch_vccnz .LBB29_148
; %bb.146:                              ;   in Loop: Header=BB29_4 Depth=1
	s_add_u32 s2, s68, s28
	s_addc_u32 s3, s69, s29
	s_add_u32 s8, s64, s28
	s_addc_u32 s9, s65, s29
	s_mov_b32 s34, s76
.LBB29_147:                             ;   Parent Loop BB29_4 Depth=1
                                        ; =>  This Inner Loop Header: Depth=2
	global_load_dwordx2 v[8:9], v2, s[2:3]
	s_add_i32 s34, s34, 1
	s_waitcnt vmcnt(0)
	v_mul_f64 v[8:9], v[6:7], v[8:9]
	global_store_dwordx2 v2, v[8:9], s[2:3]
	global_load_dwordx2 v[8:9], v2, s[8:9]
	s_add_u32 s2, s2, 8
	s_addc_u32 s3, s3, 0
	s_waitcnt vmcnt(0)
	v_mul_f64 v[8:9], v[6:7], v[8:9]
	global_store_dwordx2 v2, v[8:9], s[8:9]
	s_add_u32 s8, s8, 8
	s_addc_u32 s9, s9, 0
	s_cmp_lt_i32 s34, s16
	s_cbranch_scc1 .LBB29_147
.LBB29_148:                             ;   in Loop: Header=BB29_4 Depth=1
	v_cmp_ngt_f64_e32 vcc, s[22:23], v[4:5]
	s_cbranch_vccnz .LBB29_2
; %bb.149:                              ;   in Loop: Header=BB29_4 Depth=1
	global_load_dwordx2 v[6:7], v2, s[30:31]
	v_div_scale_f64 v[8:9], s[2:3], v[4:5], v[4:5], s[22:23]
	v_rcp_f64_e32 v[10:11], v[8:9]
	v_div_scale_f64 v[12:13], vcc, s[22:23], v[4:5], s[22:23]
	v_fma_f64 v[14:15], -v[8:9], v[10:11], 1.0
	v_fmac_f64_e32 v[10:11], v[10:11], v[14:15]
	v_fma_f64 v[14:15], -v[8:9], v[10:11], 1.0
	v_fmac_f64_e32 v[10:11], v[10:11], v[14:15]
	v_mul_f64 v[14:15], v[12:13], v[10:11]
	v_fma_f64 v[8:9], -v[8:9], v[14:15], v[12:13]
	v_div_fmas_f64 v[8:9], v[8:9], v[10:11], v[14:15]
	v_div_fixup_f64 v[4:5], v[8:9], v[4:5], s[22:23]
	s_and_b64 vcc, exec, s[0:1]
	s_waitcnt vmcnt(0)
	v_mul_f64 v[6:7], v[4:5], v[6:7]
	global_store_dwordx2 v2, v[6:7], s[30:31]
	s_cbranch_vccnz .LBB29_2
; %bb.150:                              ;   in Loop: Header=BB29_4 Depth=1
	s_add_u32 s0, s68, s28
	s_addc_u32 s1, s69, s29
	s_add_u32 s2, s64, s28
	s_addc_u32 s3, s65, s29
.LBB29_151:                             ;   Parent Loop BB29_4 Depth=1
                                        ; =>  This Inner Loop Header: Depth=2
	global_load_dwordx2 v[6:7], v2, s[0:1]
	s_add_i32 s76, s76, 1
	s_waitcnt vmcnt(0)
	v_mul_f64 v[6:7], v[4:5], v[6:7]
	global_store_dwordx2 v2, v[6:7], s[0:1]
	global_load_dwordx2 v[6:7], v2, s[2:3]
	s_add_u32 s0, s0, 8
	s_addc_u32 s1, s1, 0
	s_waitcnt vmcnt(0)
	v_mul_f64 v[6:7], v[4:5], v[6:7]
	global_store_dwordx2 v2, v[6:7], s[2:3]
	s_add_u32 s2, s2, 8
	s_addc_u32 s3, s3, 0
	s_cmp_lt_i32 s76, s16
	s_cbranch_scc1 .LBB29_151
	s_branch .LBB29_2
.LBB29_152:
	s_cmp_lt_i32 s33, 2
	s_cbranch_scc1 .LBB29_163
; %bb.153:
	s_load_dwordx2 s[0:1], s[4:5], 0x28
	s_lshl_b64 s[4:5], s[6:7], 2
	s_mov_b32 s2, 1
	v_mov_b32_e32 v0, 0
	s_waitcnt lgkmcnt(0)
	s_add_u32 s0, s0, s4
	s_addc_u32 s1, s1, s5
	s_branch .LBB29_155
.LBB29_154:                             ;   in Loop: Header=BB29_155 Depth=1
	s_add_i32 s2, s2, 1
	s_add_u32 s14, s14, 8
	s_addc_u32 s15, s15, 0
	s_cmp_lg_u32 s33, s2
	s_cbranch_scc0 .LBB29_157
.LBB29_155:                             ; =>This Inner Loop Header: Depth=1
	global_load_dwordx2 v[2:3], v0, s[14:15]
	s_waitcnt vmcnt(0)
	v_cmp_eq_f64_e32 vcc, 0, v[2:3]
	s_cbranch_vccnz .LBB29_154
; %bb.156:                              ;   in Loop: Header=BB29_155 Depth=1
	global_load_dword v1, v0, s[0:1]
	s_waitcnt vmcnt(0)
	v_add_u32_e32 v1, 1, v1
	global_store_dword v0, v1, s[0:1]
	s_branch .LBB29_154
.LBB29_157:
	s_add_u32 s14, s56, -8
	s_addc_u32 s15, s57, -1
	s_add_u32 s0, s10, s12
	s_addc_u32 s1, s11, s13
	s_add_u32 s0, s0, 8
	s_addc_u32 s1, s1, 0
	s_mov_b32 s2, 1
	v_mov_b32_e32 v4, 0
	s_branch .LBB29_159
.LBB29_158:                             ;   in Loop: Header=BB29_159 Depth=1
	s_add_i32 s2, s2, 1
	s_add_u32 s0, s0, 8
	s_addc_u32 s1, s1, 0
	s_cmp_lg_u32 s2, s33
	s_cbranch_scc0 .LBB29_163
.LBB29_159:                             ; =>This Loop Header: Depth=1
                                        ;     Child Loop BB29_160 Depth 2
	s_ashr_i32 s3, s2, 31
	s_add_i32 s7, s2, -1
	s_lshl_b64 s[4:5], s[2:3], 3
	s_add_u32 s4, s14, s4
	s_addc_u32 s5, s15, s5
	global_load_dwordx2 v[0:1], v4, s[4:5]
	s_mov_b64 s[8:9], s[0:1]
	s_mov_b32 s3, s2
	s_mov_b32 s6, s7
	s_waitcnt vmcnt(0)
	v_pk_mov_b32 v[2:3], v[0:1], v[0:1] op_sel:[0,1]
.LBB29_160:                             ;   Parent Loop BB29_159 Depth=1
                                        ; =>  This Inner Loop Header: Depth=2
	global_load_dwordx2 v[6:7], v4, s[8:9]
	s_waitcnt vmcnt(0)
	v_cmp_lt_f64_e32 vcc, v[6:7], v[2:3]
	s_and_b64 s[10:11], vcc, exec
	s_cselect_b32 s6, s3, s6
	s_add_i32 s3, s3, 1
	s_add_u32 s8, s8, 8
	s_addc_u32 s9, s9, 0
	v_cndmask_b32_e32 v3, v3, v7, vcc
	s_cmp_ge_i32 s3, s33
	v_cndmask_b32_e32 v2, v2, v6, vcc
	s_cbranch_scc0 .LBB29_160
; %bb.161:                              ;   in Loop: Header=BB29_159 Depth=1
	s_cmp_lg_u32 s6, s7
	s_cbranch_scc0 .LBB29_158
; %bb.162:                              ;   in Loop: Header=BB29_159 Depth=1
	s_ashr_i32 s7, s6, 31
	s_lshl_b64 s[6:7], s[6:7], 3
	s_add_u32 s6, s56, s6
	s_addc_u32 s7, s57, s7
	global_store_dwordx2 v4, v[0:1], s[6:7]
	global_store_dwordx2 v4, v[2:3], s[4:5]
	s_branch .LBB29_158
.LBB29_163:
	s_endpgm
	.section	.rodata,"a",@progbits
	.p2align	6, 0x0
	.amdhsa_kernel _ZN9rocsolver6v33100L12sterf_kernelIdEEviPT_lS3_lPiS4_iS2_S2_S2_
		.amdhsa_group_segment_fixed_size 0
		.amdhsa_private_segment_fixed_size 0
		.amdhsa_kernarg_size 88
		.amdhsa_user_sgpr_count 6
		.amdhsa_user_sgpr_private_segment_buffer 1
		.amdhsa_user_sgpr_dispatch_ptr 0
		.amdhsa_user_sgpr_queue_ptr 0
		.amdhsa_user_sgpr_kernarg_segment_ptr 1
		.amdhsa_user_sgpr_dispatch_id 0
		.amdhsa_user_sgpr_flat_scratch_init 0
		.amdhsa_user_sgpr_kernarg_preload_length 0
		.amdhsa_user_sgpr_kernarg_preload_offset 0
		.amdhsa_user_sgpr_private_segment_size 0
		.amdhsa_uses_dynamic_stack 0
		.amdhsa_system_sgpr_private_segment_wavefront_offset 0
		.amdhsa_system_sgpr_workgroup_id_x 1
		.amdhsa_system_sgpr_workgroup_id_y 0
		.amdhsa_system_sgpr_workgroup_id_z 0
		.amdhsa_system_sgpr_workgroup_info 0
		.amdhsa_system_vgpr_workitem_id 0
		.amdhsa_next_free_vgpr 40
		.amdhsa_next_free_sgpr 78
		.amdhsa_accum_offset 40
		.amdhsa_reserve_vcc 1
		.amdhsa_reserve_flat_scratch 0
		.amdhsa_float_round_mode_32 0
		.amdhsa_float_round_mode_16_64 0
		.amdhsa_float_denorm_mode_32 3
		.amdhsa_float_denorm_mode_16_64 3
		.amdhsa_dx10_clamp 1
		.amdhsa_ieee_mode 1
		.amdhsa_fp16_overflow 0
		.amdhsa_tg_split 0
		.amdhsa_exception_fp_ieee_invalid_op 0
		.amdhsa_exception_fp_denorm_src 0
		.amdhsa_exception_fp_ieee_div_zero 0
		.amdhsa_exception_fp_ieee_overflow 0
		.amdhsa_exception_fp_ieee_underflow 0
		.amdhsa_exception_fp_ieee_inexact 0
		.amdhsa_exception_int_div_zero 0
	.end_amdhsa_kernel
	.section	.text._ZN9rocsolver6v33100L12sterf_kernelIdEEviPT_lS3_lPiS4_iS2_S2_S2_,"axG",@progbits,_ZN9rocsolver6v33100L12sterf_kernelIdEEviPT_lS3_lPiS4_iS2_S2_S2_,comdat
.Lfunc_end29:
	.size	_ZN9rocsolver6v33100L12sterf_kernelIdEEviPT_lS3_lPiS4_iS2_S2_S2_, .Lfunc_end29-_ZN9rocsolver6v33100L12sterf_kernelIdEEviPT_lS3_lPiS4_iS2_S2_S2_
                                        ; -- End function
	.section	.AMDGPU.csdata,"",@progbits
; Kernel info:
; codeLenInByte = 8404
; NumSgprs: 82
; NumVgprs: 40
; NumAgprs: 0
; TotalNumVgprs: 40
; ScratchSize: 0
; MemoryBound: 0
; FloatMode: 240
; IeeeMode: 1
; LDSByteSize: 0 bytes/workgroup (compile time only)
; SGPRBlocks: 10
; VGPRBlocks: 4
; NumSGPRsForWavesPerEU: 82
; NumVGPRsForWavesPerEU: 40
; AccumOffset: 40
; Occupancy: 8
; WaveLimiterHint : 0
; COMPUTE_PGM_RSRC2:SCRATCH_EN: 0
; COMPUTE_PGM_RSRC2:USER_SGPR: 6
; COMPUTE_PGM_RSRC2:TRAP_HANDLER: 0
; COMPUTE_PGM_RSRC2:TGID_X_EN: 1
; COMPUTE_PGM_RSRC2:TGID_Y_EN: 0
; COMPUTE_PGM_RSRC2:TGID_Z_EN: 0
; COMPUTE_PGM_RSRC2:TIDIG_COMP_CNT: 0
; COMPUTE_PGM_RSRC3_GFX90A:ACCUM_OFFSET: 9
; COMPUTE_PGM_RSRC3_GFX90A:TG_SPLIT: 0
	.section	.text._ZN9rocsolver6v33100L11lasr_kernelIddPdiEEv13rocblas_side_14rocblas_pivot_15rocblas_direct_T2_S6_PT0_lS8_lT1_lS6_lS6_,"axG",@progbits,_ZN9rocsolver6v33100L11lasr_kernelIddPdiEEv13rocblas_side_14rocblas_pivot_15rocblas_direct_T2_S6_PT0_lS8_lT1_lS6_lS6_,comdat
	.globl	_ZN9rocsolver6v33100L11lasr_kernelIddPdiEEv13rocblas_side_14rocblas_pivot_15rocblas_direct_T2_S6_PT0_lS8_lT1_lS6_lS6_ ; -- Begin function _ZN9rocsolver6v33100L11lasr_kernelIddPdiEEv13rocblas_side_14rocblas_pivot_15rocblas_direct_T2_S6_PT0_lS8_lT1_lS6_lS6_
	.p2align	8
	.type	_ZN9rocsolver6v33100L11lasr_kernelIddPdiEEv13rocblas_side_14rocblas_pivot_15rocblas_direct_T2_S6_PT0_lS8_lT1_lS6_lS6_,@function
_ZN9rocsolver6v33100L11lasr_kernelIddPdiEEv13rocblas_side_14rocblas_pivot_15rocblas_direct_T2_S6_PT0_lS8_lT1_lS6_lS6_: ; @_ZN9rocsolver6v33100L11lasr_kernelIddPdiEEv13rocblas_side_14rocblas_pivot_15rocblas_direct_T2_S6_PT0_lS8_lT1_lS6_lS6_
; %bb.0:
	s_load_dword s33, s[4:5], 0x58
	s_waitcnt lgkmcnt(0)
	s_cmp_ge_u32 s7, s33
	s_cbranch_scc1 .LBB30_98
; %bb.1:
	s_load_dwordx4 s[0:3], s[4:5], 0x38
	s_load_dword s20, s[4:5], 0x48
	s_load_dwordx2 s[22:23], s[4:5], 0x50
	s_load_dword s26, s[4:5], 0x60
	s_load_dwordx2 s[24:25], s[4:5], 0x68
	s_load_dwordx4 s[16:19], s[4:5], 0x0
	s_load_dword s86, s[4:5], 0x10
	s_load_dwordx8 s[8:15], s[4:5], 0x18
	s_waitcnt lgkmcnt(0)
	s_ashr_i32 s21, s20, 31
	s_and_b32 s5, s25, 0xffff
	s_mul_i32 s6, s6, s5
	s_lshl_b64 s[2:3], s[2:3], 3
	v_add_u32_e32 v0, s6, v0
	s_add_u32 s6, s0, s2
	s_addc_u32 s25, s1, s3
	s_cmpk_lg_i32 s16, 0x8d
	s_cselect_b64 s[38:39], -1, 0
	s_cmpk_lg_i32 s16, 0x8e
	s_cselect_b64 s[44:45], -1, 0
	;; [unrolled: 2-line block ×6, first 2 shown]
	s_or_b64 s[28:29], s[38:39], s[42:43]
	s_or_b64 s[16:17], s[28:29], s[52:53]
	s_xor_b64 s[16:17], s[16:17], -1
	s_ashr_i32 s27, s19, 31
	s_add_i32 s62, s19, -2
	s_cmpk_lg_i32 s18, 0xac
	s_cselect_b64 s[54:55], -1, 0
	s_or_b64 s[28:29], s[28:29], s[54:55]
	s_xor_b64 s[28:29], s[28:29], -1
	s_cmp_gt_i32 s19, 1
	s_cselect_b64 s[30:31], -1, 0
	s_or_b64 s[36:37], s[38:39], s[50:51]
	s_or_b64 s[40:41], s[38:39], s[48:49]
	;; [unrolled: 1-line block ×9, first 2 shown]
	s_xor_b64 s[34:35], s[34:35], -1
	s_xor_b64 s[36:37], s[36:37], -1
	;; [unrolled: 1-line block ×5, first 2 shown]
	s_add_i32 s18, s86, -1
	s_xor_b64 s[46:47], s[46:47], -1
                                        ; implicit-def: $vgpr37 : SGPR spill to VGPR lane
	s_add_i32 s68, s86, -2
	v_writelane_b32 v37, s46, 0
	s_cmp_gt_i32 s86, 1
	v_writelane_b32 v37, s47, 1
	s_cselect_b64 s[46:47], -1, 0
	s_or_b64 s[50:51], s[44:45], s[50:51]
	s_or_b64 s[56:57], s[50:51], s[52:53]
	s_xor_b64 s[56:57], s[56:57], -1
	v_writelane_b32 v37, s56, 2
	s_or_b64 s[50:51], s[50:51], s[54:55]
	v_writelane_b32 v37, s57, 3
	s_xor_b64 s[50:51], s[50:51], -1
	s_or_b64 s[44:45], s[44:45], s[48:49]
	v_writelane_b32 v37, s50, 4
	s_or_b64 s[48:49], s[44:45], s[52:53]
	v_writelane_b32 v37, s51, 5
	s_xor_b64 s[48:49], s[48:49], -1
	v_writelane_b32 v37, s48, 6
	v_cmp_le_i32_e32 vcc, s19, v0
	v_writelane_b32 v37, s49, 7
	s_or_b64 s[48:49], s[54:55], vcc
	s_or_b64 s[44:45], s[44:45], s[48:49]
	s_xor_b64 s[44:45], s[44:45], -1
	v_writelane_b32 v37, s44, 8
	s_mul_i32 s4, s26, s5
	v_writelane_b32 v37, s45, 9
	v_mad_i64_i32 v[2:3], s[44:45], s20, v0, 0
	s_mul_hi_i32 s45, s20, s4
	s_mul_i32 s44, s20, s4
	s_mov_b32 s63, 0
	s_add_i32 s56, s19, -1
	s_lshl_b64 s[58:59], s[22:23], 3
	s_ashr_i32 s5, s4, 31
	s_lshl_b64 s[60:61], s[44:45], 3
	s_lshl_b64 s[10:11], s[10:11], 3
	;; [unrolled: 1-line block ×4, first 2 shown]
	s_add_u32 s87, s8, s44
	s_addc_u32 s88, s9, s45
	s_add_u32 s89, s12, s44
	s_addc_u32 s90, s13, s45
	s_mov_b32 s57, s63
	s_add_u32 s26, s0, s44
	s_addc_u32 s48, s1, s45
	s_add_i32 s91, s19, 1
	s_lshl_b64 s[44:45], s[56:57], 3
	s_add_u32 s49, s0, s44
	v_lshlrev_b64 v[2:3], 3, v[2:3]
	s_addc_u32 s50, s1, s45
	s_mul_i32 s44, s21, s18
	s_mul_hi_u32 s45, s20, s18
	s_mul_i32 s62, s20, s18
	v_mov_b32_e32 v1, s3
	v_add_co_u32_e32 v4, vcc, s2, v2
	s_add_i32 s45, s45, s44
	s_mov_b32 s44, s62
	v_addc_co_u32_e32 v1, vcc, v3, v1, vcc
	s_lshl_b64 s[44:45], s[44:45], 3
	s_lshl_b64 s[64:65], s[20:21], 3
	s_lshl_b64 s[66:67], s[4:5], 3
	s_add_u32 s5, s44, s2
	v_mov_b32_e32 v2, s1
	v_add_co_u32_e32 v20, vcc, s0, v4
	s_addc_u32 s44, s45, s3
	v_addc_co_u32_e32 v21, vcc, v2, v1, vcc
	s_mov_b32 s69, s63
	s_add_u32 s51, s0, s5
	v_add_co_u32_e32 v2, vcc, 8, v20
	s_addc_u32 s52, s1, s44
	s_lshl_b64 s[44:45], s[68:69], 3
	v_addc_co_u32_e32 v3, vcc, 0, v21, vcc
	s_add_u32 s5, s8, s44
	v_mov_b32_e32 v5, s48
	v_add_co_u32_e32 v22, vcc, s26, v4
	s_addc_u32 s57, s9, s45
	v_addc_co_u32_e32 v23, vcc, v5, v1, vcc
	s_add_u32 s92, s12, s44
	s_mul_i32 s21, s21, s68
	s_mul_hi_u32 s44, s20, s68
	v_add_co_u32_e32 v24, vcc, 8, v22
	s_addc_u32 s93, s13, s45
	s_add_i32 s45, s44, s21
	s_mul_i32 s44, s20, s68
	v_addc_co_u32_e32 v25, vcc, 0, v23, vcc
	s_lshl_b64 s[44:45], s[44:45], 3
	v_mov_b32_e32 v5, s50
	v_add_co_u32_e32 v26, vcc, s49, v4
	s_add_u32 s21, s44, s2
	v_addc_co_u32_e32 v27, vcc, v5, v1, vcc
	v_ashrrev_i32_e32 v1, 31, v0
	s_addc_u32 s44, s45, s3
	v_lshlrev_b64 v[4:5], 3, v[0:1]
	s_add_u32 s21, s0, s21
	v_mov_b32_e32 v6, s25
	v_add_co_u32_e32 v1, vcc, s6, v4
	s_addc_u32 s44, s1, s44
	v_addc_co_u32_e32 v28, vcc, v6, v5, vcc
	s_add_u32 s2, s2, s64
	v_mov_b32_e32 v6, s52
	v_add_co_u32_e32 v29, vcc, s51, v4
	s_addc_u32 s3, s3, s65
	v_addc_co_u32_e32 v30, vcc, v6, v5, vcc
	;; [unrolled: 5-line block ×3, first 2 shown]
	s_add_i32 s21, s86, 1
	v_mov_b32_e32 v6, s1
	v_add_co_u32_e32 v33, vcc, s2, v4
	s_sub_u32 s94, 0, s64
	v_addc_co_u32_e32 v34, vcc, v6, v5, vcc
	s_mov_b32 s26, s19
	s_mul_hi_i32 s63, s20, s18
	v_mov_b32_e32 v35, 0
	v_mov_b32_e32 v36, s61
	s_subb_u32 s95, 0, s65
	v_cmp_gt_i32_e64 s[0:1], s86, v0
	v_cmp_gt_i32_e64 s[2:3], s19, v0
	s_branch .LBB30_4
.LBB30_2:                               ;   in Loop: Header=BB30_4 Depth=1
	s_or_b64 exec, exec, s[68:69]
.LBB30_3:                               ;   in Loop: Header=BB30_4 Depth=1
	s_add_i32 s7, s7, s24
	s_cmp_ge_u32 s7, s33
	s_cbranch_scc1 .LBB30_98
.LBB30_4:                               ; =>This Loop Header: Depth=1
                                        ;     Child Loop BB30_8 Depth 2
                                        ;       Child Loop BB30_9 Depth 3
                                        ;     Child Loop BB30_16 Depth 2
                                        ;       Child Loop BB30_17 Depth 3
	;; [unrolled: 2-line block ×12, first 2 shown]
	s_mul_i32 s44, s11, s7
	s_mul_hi_u32 s45, s10, s7
	s_add_i32 s84, s45, s44
	s_mul_i32 s44, s15, s7
	s_mul_hi_u32 s45, s14, s7
	s_mul_i32 s85, s10, s7
	s_add_i32 s50, s45, s44
	s_add_u32 s68, s8, s85
	v_mov_b32_e32 v4, s7
	s_mul_i32 s51, s14, s7
	s_addc_u32 s69, s9, s84
	v_mad_u64_u32 v[4:5], s[44:45], s58, v4, v[2:3]
	s_add_u32 s70, s12, s51
	s_mul_i32 s44, s7, s23
	s_mul_hi_u32 s45, s7, s22
	s_addc_u32 s71, s13, s50
	s_add_i32 s45, s45, s44
	s_mul_i32 s44, s7, s22
	s_lshl_b64 s[44:45], s[44:45], 3
	s_mul_i32 s52, s59, s7
	s_add_u32 s54, s6, s44
	v_add_u32_e32 v5, s52, v5
	s_addc_u32 s55, s25, s45
	s_andn2_b64 vcc, exec, s[16:17]
	s_mov_b64 s[72:73], -1
	s_cbranch_vccnz .LBB30_11
; %bb.5:                                ;   in Loop: Header=BB30_4 Depth=1
	s_and_saveexec_b64 s[72:73], s[0:1]
	s_cbranch_execz .LBB30_10
; %bb.6:                                ;   in Loop: Header=BB30_4 Depth=1
	s_lshl_b64 s[44:45], s[26:27], 3
	s_add_u32 s44, s54, s44
	s_addc_u32 s45, s55, s45
	s_add_u32 s48, s44, -8
	s_addc_u32 s44, s45, -1
	s_mov_b64 s[74:75], 0
	v_mov_b32_e32 v14, s55
	v_mov_b32_e32 v15, s44
	v_pk_mov_b32 v[6:7], v[4:5], v[4:5] op_sel:[0,1]
	v_mov_b32_e32 v16, v0
	s_branch .LBB30_8
.LBB30_7:                               ;   in Loop: Header=BB30_8 Depth=2
	v_add_co_u32_e32 v8, vcc, s48, v8
	v_addc_co_u32_e32 v9, vcc, v15, v9, vcc
	v_add_u32_e32 v16, s4, v16
	v_cmp_le_i32_e32 vcc, s86, v16
	s_or_b64 s[74:75], vcc, s[74:75]
	v_add_co_u32_e32 v6, vcc, s60, v6
	v_addc_co_u32_e32 v7, vcc, v7, v36, vcc
	s_waitcnt vmcnt(0)
	global_store_dwordx2 v[8:9], v[10:11], off
	s_andn2_b64 exec, exec, s[74:75]
	s_cbranch_execz .LBB30_10
.LBB30_8:                               ;   Parent Loop BB30_4 Depth=1
                                        ; =>  This Loop Header: Depth=2
                                        ;       Child Loop BB30_9 Depth 3
	v_mad_i64_i32 v[8:9], s[44:45], v16, s20, 0
	v_lshlrev_b64 v[8:9], 3, v[8:9]
	v_add_co_u32_e32 v10, vcc, s54, v8
	v_addc_co_u32_e32 v11, vcc, v14, v9, vcc
	global_load_dwordx2 v[10:11], v[10:11], off
	s_andn2_b64 vcc, exec, s[30:31]
	s_mov_b64 s[76:77], s[70:71]
	s_mov_b64 s[78:79], s[68:69]
	v_pk_mov_b32 v[12:13], v[6:7], v[6:7] op_sel:[0,1]
	s_mov_b32 s44, s56
	s_cbranch_vccnz .LBB30_7
.LBB30_9:                               ;   Parent Loop BB30_4 Depth=1
                                        ;     Parent Loop BB30_8 Depth=2
                                        ; =>    This Inner Loop Header: Depth=3
	global_load_dwordx2 v[18:19], v35, s[76:77]
	global_load_dwordx2 v[38:39], v[12:13], off
	global_load_dwordx2 v[40:41], v35, s[78:79]
	s_add_i32 s44, s44, -1
	s_add_u32 s78, s78, 8
	s_addc_u32 s79, s79, 0
	s_add_u32 s76, s76, 8
	s_addc_u32 s77, s77, 0
	s_cmp_eq_u32 s44, 0
	s_waitcnt vmcnt(1)
	v_mul_f64 v[42:43], v[18:19], v[38:39]
	s_waitcnt vmcnt(0)
	v_fmac_f64_e32 v[42:43], v[10:11], v[40:41]
	v_mul_f64 v[18:19], v[10:11], v[18:19]
	global_store_dwordx2 v[12:13], v[42:43], off offset:-8
	v_add_co_u32_e32 v12, vcc, 8, v12
	v_fma_f64 v[10:11], v[40:41], v[38:39], -v[18:19]
	v_addc_co_u32_e32 v13, vcc, 0, v13, vcc
	s_cbranch_scc0 .LBB30_9
	s_branch .LBB30_7
.LBB30_10:                              ;   in Loop: Header=BB30_4 Depth=1
	s_or_b64 exec, exec, s[72:73]
	s_mov_b64 s[72:73], 0
.LBB30_11:                              ;   in Loop: Header=BB30_4 Depth=1
	s_andn2_b64 vcc, exec, s[72:73]
	s_cbranch_vccnz .LBB30_3
; %bb.12:                               ;   in Loop: Header=BB30_4 Depth=1
	s_mul_hi_u32 s44, s58, s7
	s_add_i32 s52, s44, s52
	s_add_u32 s72, s87, s85
	s_addc_u32 s73, s88, s84
	s_add_u32 s74, s89, s51
	s_mul_i32 s53, s58, s7
	s_addc_u32 s75, s90, s50
	s_andn2_b64 vcc, exec, s[28:29]
	s_mov_b64 s[76:77], -1
	s_cbranch_vccnz .LBB30_19
; %bb.13:                               ;   in Loop: Header=BB30_4 Depth=1
	s_and_saveexec_b64 s[76:77], s[0:1]
	s_cbranch_execz .LBB30_18
; %bb.14:                               ;   in Loop: Header=BB30_4 Depth=1
	s_lshl_b64 s[44:45], s[26:27], 3
	s_add_u32 s44, s54, s44
	s_addc_u32 s45, s55, s45
	v_mov_b32_e32 v7, s52
	v_add_co_u32_e32 v6, vcc, s53, v24
	s_add_u32 s48, s44, -8
	v_addc_co_u32_e32 v7, vcc, v25, v7, vcc
	s_addc_u32 s49, s45, -1
	s_mov_b64 s[78:79], 0
	v_mov_b32_e32 v14, v0
	s_branch .LBB30_16
.LBB30_15:                              ;   in Loop: Header=BB30_16 Depth=2
	v_mov_b32_e32 v10, s55
	v_add_co_u32_e32 v8, vcc, s54, v8
	v_addc_co_u32_e32 v9, vcc, v10, v9, vcc
	v_add_u32_e32 v14, s4, v14
	v_cmp_le_i32_e32 vcc, s86, v14
	s_waitcnt vmcnt(0)
	global_store_dwordx2 v[8:9], v[12:13], off
	v_mov_b32_e32 v8, s61
	s_or_b64 s[78:79], vcc, s[78:79]
	v_add_co_u32_e32 v6, vcc, s60, v6
	v_addc_co_u32_e32 v7, vcc, v7, v8, vcc
	s_andn2_b64 exec, exec, s[78:79]
	s_cbranch_execz .LBB30_18
.LBB30_16:                              ;   Parent Loop BB30_4 Depth=1
                                        ; =>  This Loop Header: Depth=2
                                        ;       Child Loop BB30_17 Depth 3
	v_mad_i64_i32 v[8:9], s[44:45], v14, s20, 0
	v_lshlrev_b64 v[8:9], 3, v[8:9]
	v_mov_b32_e32 v11, s49
	v_add_co_u32_e32 v10, vcc, s48, v8
	v_addc_co_u32_e32 v11, vcc, v11, v9, vcc
	global_load_dwordx2 v[12:13], v[10:11], off
	s_andn2_b64 vcc, exec, s[30:31]
	v_pk_mov_b32 v[10:11], v[6:7], v[6:7] op_sel:[0,1]
	s_mov_b64 s[80:81], s[74:75]
	s_mov_b64 s[82:83], s[72:73]
	s_mov_b32 s44, s56
	s_cbranch_vccnz .LBB30_15
.LBB30_17:                              ;   Parent Loop BB30_4 Depth=1
                                        ;     Parent Loop BB30_16 Depth=2
                                        ; =>    This Inner Loop Header: Depth=3
	global_load_dwordx2 v[16:17], v[10:11], off offset:-8
	global_load_dwordx2 v[18:19], v35, s[80:81]
	global_load_dwordx2 v[38:39], v35, s[82:83]
	s_add_i32 s44, s44, -1
	s_add_u32 s82, s82, -8
	s_addc_u32 s83, s83, -1
	s_waitcnt vmcnt(3)
	v_pk_mov_b32 v[40:41], v[12:13], v[12:13] op_sel:[0,1]
	v_add_co_u32_e32 v42, vcc, -8, v10
	s_add_u32 s80, s80, -8
	v_addc_co_u32_e32 v43, vcc, -1, v11, vcc
	s_addc_u32 s81, s81, -1
	s_cmp_eq_u32 s44, 0
	s_waitcnt vmcnt(1)
	v_mul_f64 v[44:45], v[18:19], v[16:17]
	s_waitcnt vmcnt(0)
	v_mul_f64 v[12:13], v[38:39], v[16:17]
	v_fma_f64 v[16:17], v[40:41], v[38:39], -v[44:45]
	v_fmac_f64_e32 v[12:13], v[40:41], v[18:19]
	global_store_dwordx2 v[10:11], v[16:17], off
	v_pk_mov_b32 v[10:11], v[42:43], v[42:43] op_sel:[0,1]
	s_cbranch_scc0 .LBB30_17
	s_branch .LBB30_15
.LBB30_18:                              ;   in Loop: Header=BB30_4 Depth=1
	s_or_b64 exec, exec, s[76:77]
	s_mov_b64 s[76:77], 0
.LBB30_19:                              ;   in Loop: Header=BB30_4 Depth=1
	s_andn2_b64 vcc, exec, s[76:77]
	s_cbranch_vccnz .LBB30_3
; %bb.20:                               ;   in Loop: Header=BB30_4 Depth=1
	s_andn2_b64 vcc, exec, s[34:35]
	s_mov_b64 s[76:77], -1
	s_cbranch_vccnz .LBB30_27
; %bb.21:                               ;   in Loop: Header=BB30_4 Depth=1
	s_and_saveexec_b64 s[76:77], s[0:1]
	s_cbranch_execz .LBB30_26
; %bb.22:                               ;   in Loop: Header=BB30_4 Depth=1
	s_mov_b64 s[78:79], 0
	v_mov_b32_e32 v12, v0
	s_branch .LBB30_24
.LBB30_23:                              ;   in Loop: Header=BB30_24 Depth=2
	v_add_u32_e32 v12, s4, v12
	v_cmp_le_i32_e32 vcc, s86, v12
	s_waitcnt vmcnt(0)
	global_store_dwordx2 v[6:7], v[10:11], off
	v_mov_b32_e32 v6, s61
	s_or_b64 s[78:79], vcc, s[78:79]
	v_add_co_u32_e32 v4, vcc, s60, v4
	v_addc_co_u32_e32 v5, vcc, v5, v6, vcc
	s_andn2_b64 exec, exec, s[78:79]
	s_cbranch_execz .LBB30_26
.LBB30_24:                              ;   Parent Loop BB30_4 Depth=1
                                        ; =>  This Loop Header: Depth=2
                                        ;       Child Loop BB30_25 Depth 3
	v_mad_i64_i32 v[6:7], s[44:45], v12, s20, 0
	v_lshlrev_b64 v[6:7], 3, v[6:7]
	v_mov_b32_e32 v8, s55
	v_add_co_u32_e32 v6, vcc, s54, v6
	v_addc_co_u32_e32 v7, vcc, v8, v7, vcc
	global_load_dwordx2 v[10:11], v[6:7], off
	s_andn2_b64 vcc, exec, s[30:31]
	v_pk_mov_b32 v[8:9], v[4:5], v[4:5] op_sel:[0,1]
	s_mov_b32 s44, s56
	s_mov_b64 s[80:81], s[68:69]
	s_mov_b64 s[82:83], s[70:71]
	s_cbranch_vccnz .LBB30_23
.LBB30_25:                              ;   Parent Loop BB30_4 Depth=1
                                        ;     Parent Loop BB30_24 Depth=2
                                        ; =>    This Inner Loop Header: Depth=3
	global_load_dwordx2 v[14:15], v35, s[82:83]
	global_load_dwordx2 v[16:17], v[8:9], off
	global_load_dwordx2 v[18:19], v35, s[80:81]
	s_waitcnt vmcnt(3)
	v_pk_mov_b32 v[38:39], v[10:11], v[10:11] op_sel:[0,1]
	s_add_u32 s82, s82, 8
	s_addc_u32 s83, s83, 0
	s_add_u32 s80, s80, 8
	s_addc_u32 s81, s81, 0
	s_add_i32 s44, s44, -1
	s_cmp_eq_u32 s44, 0
	s_waitcnt vmcnt(2)
	v_mul_f64 v[40:41], v[38:39], v[14:15]
	s_waitcnt vmcnt(1)
	v_mul_f64 v[10:11], v[14:15], v[16:17]
	s_waitcnt vmcnt(0)
	v_fma_f64 v[14:15], v[18:19], v[16:17], -v[40:41]
	global_store_dwordx2 v[8:9], v[14:15], off
	v_add_co_u32_e32 v8, vcc, 8, v8
	v_fmac_f64_e32 v[10:11], v[38:39], v[18:19]
	v_addc_co_u32_e32 v9, vcc, 0, v9, vcc
	s_cbranch_scc0 .LBB30_25
	s_branch .LBB30_23
.LBB30_26:                              ;   in Loop: Header=BB30_4 Depth=1
	s_or_b64 exec, exec, s[76:77]
	s_mov_b64 s[76:77], 0
.LBB30_27:                              ;   in Loop: Header=BB30_4 Depth=1
	s_andn2_b64 vcc, exec, s[76:77]
	s_cbranch_vccnz .LBB30_3
; %bb.28:                               ;   in Loop: Header=BB30_4 Depth=1
	s_andn2_b64 vcc, exec, s[36:37]
	s_mov_b64 s[76:77], -1
	s_cbranch_vccnz .LBB30_35
; %bb.29:                               ;   in Loop: Header=BB30_4 Depth=1
	s_and_saveexec_b64 s[76:77], s[0:1]
	s_cbranch_execz .LBB30_34
; %bb.30:                               ;   in Loop: Header=BB30_4 Depth=1
	v_mov_b32_e32 v5, s52
	v_add_co_u32_e32 v4, vcc, s53, v26
	v_addc_co_u32_e32 v5, vcc, v27, v5, vcc
	s_mov_b64 s[78:79], 0
	v_mov_b32_e32 v12, v0
	s_branch .LBB30_32
.LBB30_31:                              ;   in Loop: Header=BB30_32 Depth=2
	v_add_u32_e32 v12, s4, v12
	v_cmp_le_i32_e32 vcc, s86, v12
	s_waitcnt vmcnt(0)
	global_store_dwordx2 v[6:7], v[10:11], off
	v_mov_b32_e32 v6, s61
	s_or_b64 s[78:79], vcc, s[78:79]
	v_add_co_u32_e32 v4, vcc, s60, v4
	v_addc_co_u32_e32 v5, vcc, v5, v6, vcc
	s_andn2_b64 exec, exec, s[78:79]
	s_cbranch_execz .LBB30_34
.LBB30_32:                              ;   Parent Loop BB30_4 Depth=1
                                        ; =>  This Loop Header: Depth=2
                                        ;       Child Loop BB30_33 Depth 3
	v_mad_i64_i32 v[6:7], s[44:45], v12, s20, 0
	v_lshlrev_b64 v[6:7], 3, v[6:7]
	v_mov_b32_e32 v8, s55
	v_add_co_u32_e32 v6, vcc, s54, v6
	v_addc_co_u32_e32 v7, vcc, v8, v7, vcc
	global_load_dwordx2 v[10:11], v[6:7], off
	s_andn2_b64 vcc, exec, s[30:31]
	v_pk_mov_b32 v[8:9], v[4:5], v[4:5] op_sel:[0,1]
	s_mov_b64 s[80:81], s[74:75]
	s_mov_b64 s[82:83], s[72:73]
	s_mov_b32 s44, s91
	s_cbranch_vccnz .LBB30_31
.LBB30_33:                              ;   Parent Loop BB30_4 Depth=1
                                        ;     Parent Loop BB30_32 Depth=2
                                        ; =>    This Inner Loop Header: Depth=3
	global_load_dwordx2 v[14:15], v35, s[80:81]
	global_load_dwordx2 v[16:17], v[8:9], off
	global_load_dwordx2 v[18:19], v35, s[82:83]
	s_add_i32 s44, s44, -1
	s_waitcnt vmcnt(3)
	v_pk_mov_b32 v[38:39], v[10:11], v[10:11] op_sel:[0,1]
	s_add_u32 s82, s82, -8
	s_addc_u32 s83, s83, -1
	s_add_u32 s80, s80, -8
	s_addc_u32 s81, s81, -1
	s_cmp_lt_u32 s44, 3
	s_waitcnt vmcnt(2)
	v_mul_f64 v[40:41], v[38:39], v[14:15]
	s_waitcnt vmcnt(1)
	v_mul_f64 v[10:11], v[14:15], v[16:17]
	s_waitcnt vmcnt(0)
	v_fma_f64 v[14:15], v[18:19], v[16:17], -v[40:41]
	global_store_dwordx2 v[8:9], v[14:15], off
	v_add_co_u32_e32 v8, vcc, -8, v8
	v_fmac_f64_e32 v[10:11], v[38:39], v[18:19]
	v_addc_co_u32_e32 v9, vcc, -1, v9, vcc
	s_cbranch_scc0 .LBB30_33
	s_branch .LBB30_31
.LBB30_34:                              ;   in Loop: Header=BB30_4 Depth=1
	s_or_b64 exec, exec, s[76:77]
	s_mov_b64 s[76:77], 0
.LBB30_35:                              ;   in Loop: Header=BB30_4 Depth=1
	s_andn2_b64 vcc, exec, s[76:77]
	s_cbranch_vccnz .LBB30_3
; %bb.36:                               ;   in Loop: Header=BB30_4 Depth=1
	s_andn2_b64 vcc, exec, s[38:39]
	s_mov_b64 s[76:77], -1
	s_cbranch_vccnz .LBB30_43
; %bb.37:                               ;   in Loop: Header=BB30_4 Depth=1
	s_and_saveexec_b64 s[76:77], s[0:1]
	s_cbranch_execz .LBB30_42
; %bb.38:                               ;   in Loop: Header=BB30_4 Depth=1
	s_lshl_b64 s[44:45], s[26:27], 3
	s_add_u32 s44, s54, s44
	s_addc_u32 s45, s55, s45
	v_mov_b32_e32 v5, s52
	v_add_co_u32_e32 v4, vcc, s53, v20
	s_add_u32 s48, s44, -8
	v_addc_co_u32_e32 v5, vcc, v21, v5, vcc
	s_addc_u32 s49, s45, -1
	s_mov_b64 s[78:79], 0
	v_mov_b32_e32 v12, v0
	s_branch .LBB30_40
.LBB30_39:                              ;   in Loop: Header=BB30_40 Depth=2
	v_add_u32_e32 v12, s4, v12
	v_cmp_le_i32_e32 vcc, s86, v12
	s_waitcnt vmcnt(0)
	global_store_dwordx2 v[6:7], v[8:9], off
	v_mov_b32_e32 v6, s61
	s_or_b64 s[78:79], vcc, s[78:79]
	v_add_co_u32_e32 v4, vcc, s60, v4
	v_addc_co_u32_e32 v5, vcc, v5, v6, vcc
	s_andn2_b64 exec, exec, s[78:79]
	s_cbranch_execz .LBB30_42
.LBB30_40:                              ;   Parent Loop BB30_4 Depth=1
                                        ; =>  This Loop Header: Depth=2
                                        ;       Child Loop BB30_41 Depth 3
	v_mad_i64_i32 v[6:7], s[44:45], v12, s20, 0
	v_lshlrev_b64 v[6:7], 3, v[6:7]
	v_mov_b32_e32 v8, s49
	v_add_co_u32_e32 v6, vcc, s48, v6
	v_addc_co_u32_e32 v7, vcc, v8, v7, vcc
	global_load_dwordx2 v[8:9], v[6:7], off
	s_andn2_b64 vcc, exec, s[30:31]
	v_pk_mov_b32 v[10:11], v[4:5], v[4:5] op_sel:[0,1]
	s_mov_b64 s[80:81], s[70:71]
	s_mov_b64 s[82:83], s[68:69]
	s_mov_b32 s44, s56
	s_cbranch_vccnz .LBB30_39
.LBB30_41:                              ;   Parent Loop BB30_4 Depth=1
                                        ;     Parent Loop BB30_40 Depth=2
                                        ; =>    This Inner Loop Header: Depth=3
	global_load_dwordx2 v[14:15], v[10:11], off
	global_load_dwordx2 v[16:17], v35, s[82:83]
	global_load_dwordx2 v[18:19], v35, s[80:81]
	s_add_i32 s44, s44, -1
	s_add_u32 s82, s82, 8
	s_addc_u32 s83, s83, 0
	s_add_u32 s80, s80, 8
	s_addc_u32 s81, s81, 0
	s_cmp_eq_u32 s44, 0
	s_waitcnt vmcnt(1)
	v_mul_f64 v[38:39], v[16:17], v[14:15]
	s_waitcnt vmcnt(0)
	v_fmac_f64_e32 v[38:39], v[8:9], v[18:19]
	v_mul_f64 v[14:15], v[18:19], v[14:15]
	global_store_dwordx2 v[10:11], v[38:39], off
	v_add_co_u32_e32 v10, vcc, 8, v10
	v_fma_f64 v[8:9], v[8:9], v[16:17], -v[14:15]
	v_addc_co_u32_e32 v11, vcc, 0, v11, vcc
	s_cbranch_scc0 .LBB30_41
	s_branch .LBB30_39
.LBB30_42:                              ;   in Loop: Header=BB30_4 Depth=1
	s_or_b64 exec, exec, s[76:77]
	s_mov_b64 s[76:77], 0
.LBB30_43:                              ;   in Loop: Header=BB30_4 Depth=1
	s_andn2_b64 vcc, exec, s[76:77]
	s_cbranch_vccnz .LBB30_3
; %bb.44:                               ;   in Loop: Header=BB30_4 Depth=1
	s_andn2_b64 vcc, exec, s[40:41]
	s_mov_b64 s[76:77], -1
	s_cbranch_vccnz .LBB30_51
; %bb.45:                               ;   in Loop: Header=BB30_4 Depth=1
	s_and_saveexec_b64 s[76:77], s[0:1]
	s_cbranch_execz .LBB30_50
; %bb.46:                               ;   in Loop: Header=BB30_4 Depth=1
	s_lshl_b64 s[44:45], s[26:27], 3
	s_add_u32 s44, s54, s44
	s_addc_u32 s45, s55, s45
	v_mov_b32_e32 v5, s52
	v_add_co_u32_e32 v4, vcc, s53, v22
	s_add_u32 s48, s44, -8
	v_addc_co_u32_e32 v5, vcc, v23, v5, vcc
	s_addc_u32 s49, s45, -1
	s_mov_b64 s[78:79], 0
	v_mov_b32_e32 v12, v0
	s_branch .LBB30_48
.LBB30_47:                              ;   in Loop: Header=BB30_48 Depth=2
	v_add_u32_e32 v12, s4, v12
	v_cmp_le_i32_e32 vcc, s86, v12
	s_waitcnt vmcnt(0)
	global_store_dwordx2 v[6:7], v[8:9], off
	v_mov_b32_e32 v6, s61
	s_or_b64 s[78:79], vcc, s[78:79]
	v_add_co_u32_e32 v4, vcc, s60, v4
	v_addc_co_u32_e32 v5, vcc, v5, v6, vcc
	s_andn2_b64 exec, exec, s[78:79]
	s_cbranch_execz .LBB30_50
.LBB30_48:                              ;   Parent Loop BB30_4 Depth=1
                                        ; =>  This Loop Header: Depth=2
                                        ;       Child Loop BB30_49 Depth 3
	v_mad_i64_i32 v[6:7], s[44:45], v12, s20, 0
	v_lshlrev_b64 v[6:7], 3, v[6:7]
	v_mov_b32_e32 v8, s49
	v_add_co_u32_e32 v6, vcc, s48, v6
	v_addc_co_u32_e32 v7, vcc, v8, v7, vcc
	global_load_dwordx2 v[8:9], v[6:7], off
	s_andn2_b64 vcc, exec, s[30:31]
	v_pk_mov_b32 v[10:11], v[4:5], v[4:5] op_sel:[0,1]
	s_mov_b64 s[80:81], s[74:75]
	s_mov_b64 s[82:83], s[72:73]
	s_mov_b32 s44, s56
	s_cbranch_vccnz .LBB30_47
.LBB30_49:                              ;   Parent Loop BB30_4 Depth=1
                                        ;     Parent Loop BB30_48 Depth=2
                                        ; =>    This Inner Loop Header: Depth=3
	global_load_dwordx2 v[14:15], v[10:11], off
	global_load_dwordx2 v[16:17], v35, s[82:83]
	global_load_dwordx2 v[18:19], v35, s[80:81]
	s_add_i32 s44, s44, -1
	s_add_u32 s82, s82, -8
	s_addc_u32 s83, s83, -1
	s_add_u32 s80, s80, -8
	s_addc_u32 s81, s81, -1
	s_cmp_eq_u32 s44, 0
	s_waitcnt vmcnt(1)
	v_mul_f64 v[38:39], v[16:17], v[14:15]
	s_waitcnt vmcnt(0)
	v_fmac_f64_e32 v[38:39], v[8:9], v[18:19]
	v_mul_f64 v[14:15], v[18:19], v[14:15]
	global_store_dwordx2 v[10:11], v[38:39], off
	v_add_co_u32_e32 v10, vcc, -8, v10
	v_fma_f64 v[8:9], v[8:9], v[16:17], -v[14:15]
	v_addc_co_u32_e32 v11, vcc, -1, v11, vcc
	s_cbranch_scc0 .LBB30_49
	s_branch .LBB30_47
.LBB30_50:                              ;   in Loop: Header=BB30_4 Depth=1
	s_or_b64 exec, exec, s[76:77]
	s_mov_b64 s[76:77], 0
.LBB30_51:                              ;   in Loop: Header=BB30_4 Depth=1
	s_andn2_b64 vcc, exec, s[76:77]
	s_cbranch_vccnz .LBB30_3
; %bb.52:                               ;   in Loop: Header=BB30_4 Depth=1
	v_mov_b32_e32 v5, s52
	v_add_co_u32_e32 v4, vcc, s53, v1
	v_addc_co_u32_e32 v5, vcc, v28, v5, vcc
	s_andn2_b64 vcc, exec, s[42:43]
	s_mov_b64 s[72:73], -1
	s_cbranch_vccnz .LBB30_59
; %bb.53:                               ;   in Loop: Header=BB30_4 Depth=1
	s_and_saveexec_b64 s[72:73], s[2:3]
	s_cbranch_execz .LBB30_58
; %bb.54:                               ;   in Loop: Header=BB30_4 Depth=1
	s_lshl_b64 s[44:45], s[62:63], 3
	s_add_u32 s48, s54, s44
	s_addc_u32 s49, s55, s45
	s_mov_b64 s[74:75], 0
	v_pk_mov_b32 v[6:7], v[4:5], v[4:5] op_sel:[0,1]
	v_mov_b32_e32 v8, v0
	s_branch .LBB30_56
.LBB30_55:                              ;   in Loop: Header=BB30_56 Depth=2
	v_mov_b32_e32 v9, s49
	v_add_co_u32_e32 v10, vcc, s48, v10
	v_addc_co_u32_e32 v11, vcc, v9, v11, vcc
	v_add_u32_e32 v8, s4, v8
	v_cmp_le_i32_e32 vcc, s19, v8
	v_mov_b32_e32 v9, s67
	s_or_b64 s[74:75], vcc, s[74:75]
	v_add_co_u32_e32 v6, vcc, s66, v6
	v_addc_co_u32_e32 v7, vcc, v7, v9, vcc
	s_waitcnt vmcnt(0)
	global_store_dwordx2 v[10:11], v[12:13], off
	s_andn2_b64 exec, exec, s[74:75]
	s_cbranch_execz .LBB30_58
.LBB30_56:                              ;   Parent Loop BB30_4 Depth=1
                                        ; =>  This Loop Header: Depth=2
                                        ;       Child Loop BB30_57 Depth 3
	v_ashrrev_i32_e32 v9, 31, v8
	v_lshlrev_b64 v[10:11], 3, v[8:9]
	v_mov_b32_e32 v9, s55
	v_add_co_u32_e32 v12, vcc, s54, v10
	v_addc_co_u32_e32 v13, vcc, v9, v11, vcc
	global_load_dwordx2 v[12:13], v[12:13], off
	s_andn2_b64 vcc, exec, s[46:47]
	s_mov_b64 s[76:77], s[70:71]
	s_mov_b64 s[78:79], s[68:69]
	v_pk_mov_b32 v[14:15], v[6:7], v[6:7] op_sel:[0,1]
	s_mov_b32 s44, s18
	s_cbranch_vccnz .LBB30_55
.LBB30_57:                              ;   Parent Loop BB30_4 Depth=1
                                        ;     Parent Loop BB30_56 Depth=2
                                        ; =>    This Inner Loop Header: Depth=3
	v_mov_b32_e32 v9, s65
	v_add_co_u32_e32 v18, vcc, s64, v14
	global_load_dwordx2 v[16:17], v35, s[76:77]
	v_addc_co_u32_e32 v19, vcc, v15, v9, vcc
	global_load_dwordx2 v[38:39], v[18:19], off
	global_load_dwordx2 v[40:41], v35, s[78:79]
	s_add_i32 s44, s44, -1
	s_add_u32 s78, s78, 8
	s_addc_u32 s79, s79, 0
	s_add_u32 s76, s76, 8
	s_addc_u32 s77, s77, 0
	s_cmp_eq_u32 s44, 0
	s_waitcnt vmcnt(2)
	v_mul_f64 v[42:43], v[12:13], v[16:17]
	s_waitcnt vmcnt(1)
	v_mul_f64 v[16:17], v[16:17], v[38:39]
	s_waitcnt vmcnt(0)
	v_fmac_f64_e32 v[16:17], v[12:13], v[40:41]
	v_fma_f64 v[12:13], v[40:41], v[38:39], -v[42:43]
	global_store_dwordx2 v[14:15], v[16:17], off
	v_pk_mov_b32 v[14:15], v[18:19], v[18:19] op_sel:[0,1]
	s_cbranch_scc0 .LBB30_57
	s_branch .LBB30_55
.LBB30_58:                              ;   in Loop: Header=BB30_4 Depth=1
	s_or_b64 exec, exec, s[72:73]
	s_mov_b64 s[72:73], 0
.LBB30_59:                              ;   in Loop: Header=BB30_4 Depth=1
	s_andn2_b64 vcc, exec, s[72:73]
	s_cbranch_vccnz .LBB30_3
; %bb.60:                               ;   in Loop: Header=BB30_4 Depth=1
	v_mov_b32_e32 v7, s52
	v_add_co_u32_e32 v6, vcc, s53, v31
	s_add_u32 s72, s5, s85
	v_addc_co_u32_e32 v7, vcc, v32, v7, vcc
	s_addc_u32 s73, s57, s84
	v_mov_b32_e32 v9, s52
	v_add_co_u32_e32 v8, vcc, s53, v29
	v_readlane_b32 s44, v37, 0
	s_add_u32 s74, s92, s51
	v_addc_co_u32_e32 v9, vcc, v30, v9, vcc
	v_readlane_b32 s45, v37, 1
	s_addc_u32 s75, s93, s50
	s_andn2_b64 vcc, exec, s[44:45]
	s_mov_b64 s[76:77], -1
	s_cbranch_vccnz .LBB30_68
; %bb.61:                               ;   in Loop: Header=BB30_4 Depth=1
	s_and_saveexec_b64 s[76:77], s[2:3]
	s_cbranch_execz .LBB30_67
; %bb.62:                               ;   in Loop: Header=BB30_4 Depth=1
	s_lshl_b64 s[44:45], s[62:63], 3
	s_add_u32 s50, s54, s44
	s_addc_u32 s51, s55, s45
	s_mov_b64 s[78:79], 0
	v_pk_mov_b32 v[10:11], v[6:7], v[6:7] op_sel:[0,1]
	v_pk_mov_b32 v[12:13], v[8:9], v[8:9] op_sel:[0,1]
	v_mov_b32_e32 v14, v0
	s_branch .LBB30_64
.LBB30_63:                              ;   in Loop: Header=BB30_64 Depth=2
	v_mov_b32_e32 v15, s55
	v_add_co_u32_e32 v16, vcc, s54, v16
	v_addc_co_u32_e32 v17, vcc, v15, v17, vcc
	v_mov_b32_e32 v15, s67
	v_add_co_u32_e32 v12, vcc, s66, v12
	v_add_u32_e32 v14, s4, v14
	v_addc_co_u32_e32 v13, vcc, v13, v15, vcc
	v_cmp_le_i32_e32 vcc, s19, v14
	s_or_b64 s[78:79], vcc, s[78:79]
	v_add_co_u32_e32 v10, vcc, s66, v10
	v_addc_co_u32_e32 v11, vcc, v11, v15, vcc
	s_waitcnt vmcnt(0)
	global_store_dwordx2 v[16:17], v[18:19], off
	s_andn2_b64 exec, exec, s[78:79]
	s_cbranch_execz .LBB30_67
.LBB30_64:                              ;   Parent Loop BB30_4 Depth=1
                                        ; =>  This Loop Header: Depth=2
                                        ;       Child Loop BB30_66 Depth 3
	v_ashrrev_i32_e32 v15, 31, v14
	v_lshlrev_b64 v[16:17], 3, v[14:15]
	v_mov_b32_e32 v15, s51
	v_add_co_u32_e32 v18, vcc, s50, v16
	v_addc_co_u32_e32 v19, vcc, v15, v17, vcc
	global_load_dwordx2 v[18:19], v[18:19], off
	s_andn2_b64 vcc, exec, s[46:47]
	s_cbranch_vccnz .LBB30_63
; %bb.65:                               ;   in Loop: Header=BB30_64 Depth=2
	s_mov_b64 s[80:81], 0
	s_mov_b64 s[82:83], s[74:75]
	;; [unrolled: 1-line block ×3, first 2 shown]
	s_mov_b32 s48, s18
.LBB30_66:                              ;   Parent Loop BB30_4 Depth=1
                                        ;     Parent Loop BB30_64 Depth=2
                                        ; =>    This Inner Loop Header: Depth=3
	v_mov_b32_e32 v15, s81
	v_add_co_u32_e32 v42, vcc, s80, v10
	v_addc_co_u32_e32 v43, vcc, v11, v15, vcc
	global_load_dwordx2 v[38:39], v35, s[84:85]
	global_load_dwordx2 v[40:41], v35, s[82:83]
	s_add_i32 s48, s48, -1
	global_load_dwordx2 v[42:43], v[42:43], off
	v_add_co_u32_e32 v46, vcc, s80, v12
	s_sub_u32 s80, s80, s64
	s_subb_u32 s81, s81, s65
	s_add_u32 s84, s84, -8
	s_addc_u32 s85, s85, -1
	s_add_u32 s82, s82, -8
	s_waitcnt vmcnt(3)
	v_pk_mov_b32 v[44:45], v[18:19], v[18:19] op_sel:[0,1]
	s_addc_u32 s83, s83, -1
	v_addc_co_u32_e32 v47, vcc, v13, v15, vcc
	s_cmp_eq_u32 s48, 0
	s_waitcnt vmcnt(0)
	v_mul_f64 v[48:49], v[40:41], v[42:43]
	v_mul_f64 v[18:19], v[38:39], v[42:43]
	v_fma_f64 v[38:39], v[44:45], v[38:39], -v[48:49]
	v_fmac_f64_e32 v[18:19], v[44:45], v[40:41]
	global_store_dwordx2 v[46:47], v[38:39], off
	s_cbranch_scc0 .LBB30_66
	s_branch .LBB30_63
.LBB30_67:                              ;   in Loop: Header=BB30_4 Depth=1
	s_or_b64 exec, exec, s[76:77]
	s_mov_b64 s[76:77], 0
.LBB30_68:                              ;   in Loop: Header=BB30_4 Depth=1
	s_andn2_b64 vcc, exec, s[76:77]
	s_cbranch_vccnz .LBB30_3
; %bb.69:                               ;   in Loop: Header=BB30_4 Depth=1
	v_readlane_b32 s44, v37, 2
	v_readlane_b32 s45, v37, 3
	s_andn2_b64 vcc, exec, s[44:45]
	s_mov_b64 s[76:77], -1
	s_cbranch_vccnz .LBB30_76
; %bb.70:                               ;   in Loop: Header=BB30_4 Depth=1
	s_and_saveexec_b64 s[76:77], s[2:3]
	s_cbranch_execz .LBB30_75
; %bb.71:                               ;   in Loop: Header=BB30_4 Depth=1
	v_mov_b32_e32 v11, s52
	v_add_co_u32_e32 v10, vcc, s53, v33
	v_addc_co_u32_e32 v11, vcc, v34, v11, vcc
	s_mov_b64 s[78:79], 0
	v_mov_b32_e32 v12, v0
	s_branch .LBB30_73
.LBB30_72:                              ;   in Loop: Header=BB30_73 Depth=2
	v_add_u32_e32 v12, s4, v12
	v_cmp_le_i32_e32 vcc, s19, v12
	v_mov_b32_e32 v13, s67
	s_or_b64 s[78:79], vcc, s[78:79]
	v_add_co_u32_e32 v10, vcc, s66, v10
	v_addc_co_u32_e32 v11, vcc, v11, v13, vcc
	s_waitcnt vmcnt(0)
	global_store_dwordx2 v[14:15], v[18:19], off
	s_andn2_b64 exec, exec, s[78:79]
	s_cbranch_execz .LBB30_75
.LBB30_73:                              ;   Parent Loop BB30_4 Depth=1
                                        ; =>  This Loop Header: Depth=2
                                        ;       Child Loop BB30_74 Depth 3
	v_ashrrev_i32_e32 v13, 31, v12
	v_lshlrev_b64 v[14:15], 3, v[12:13]
	v_mov_b32_e32 v13, s55
	v_add_co_u32_e32 v14, vcc, s54, v14
	v_addc_co_u32_e32 v15, vcc, v13, v15, vcc
	global_load_dwordx2 v[18:19], v[14:15], off
	s_andn2_b64 vcc, exec, s[46:47]
	v_pk_mov_b32 v[16:17], v[10:11], v[10:11] op_sel:[0,1]
	s_mov_b32 s48, s18
	s_mov_b64 s[80:81], s[68:69]
	s_mov_b64 s[82:83], s[70:71]
	s_cbranch_vccnz .LBB30_72
.LBB30_74:                              ;   Parent Loop BB30_4 Depth=1
                                        ;     Parent Loop BB30_73 Depth=2
                                        ; =>    This Inner Loop Header: Depth=3
	global_load_dwordx2 v[38:39], v35, s[82:83]
	global_load_dwordx2 v[40:41], v[16:17], off
	global_load_dwordx2 v[42:43], v35, s[80:81]
	s_waitcnt vmcnt(3)
	v_pk_mov_b32 v[44:45], v[18:19], v[18:19] op_sel:[0,1]
	s_add_u32 s82, s82, 8
	s_addc_u32 s83, s83, 0
	s_add_u32 s80, s80, 8
	v_mov_b32_e32 v13, s65
	s_addc_u32 s81, s81, 0
	s_add_i32 s48, s48, -1
	s_cmp_eq_u32 s48, 0
	s_waitcnt vmcnt(2)
	v_mul_f64 v[46:47], v[44:45], v[38:39]
	s_waitcnt vmcnt(1)
	v_mul_f64 v[18:19], v[38:39], v[40:41]
	s_waitcnt vmcnt(0)
	v_fma_f64 v[38:39], v[42:43], v[40:41], -v[46:47]
	global_store_dwordx2 v[16:17], v[38:39], off
	v_add_co_u32_e32 v16, vcc, s64, v16
	v_fmac_f64_e32 v[18:19], v[44:45], v[42:43]
	v_addc_co_u32_e32 v17, vcc, v17, v13, vcc
	s_cbranch_scc0 .LBB30_74
	s_branch .LBB30_72
.LBB30_75:                              ;   in Loop: Header=BB30_4 Depth=1
	s_or_b64 exec, exec, s[76:77]
	s_mov_b64 s[76:77], 0
.LBB30_76:                              ;   in Loop: Header=BB30_4 Depth=1
	s_andn2_b64 vcc, exec, s[76:77]
	s_cbranch_vccnz .LBB30_3
; %bb.77:                               ;   in Loop: Header=BB30_4 Depth=1
	v_readlane_b32 s44, v37, 4
	v_readlane_b32 s45, v37, 5
	s_andn2_b64 vcc, exec, s[44:45]
	s_mov_b64 s[76:77], -1
	s_cbranch_vccnz .LBB30_84
; %bb.78:                               ;   in Loop: Header=BB30_4 Depth=1
	s_and_saveexec_b64 s[76:77], s[2:3]
	s_cbranch_execz .LBB30_83
; %bb.79:                               ;   in Loop: Header=BB30_4 Depth=1
	s_mov_b64 s[78:79], 0
	v_mov_b32_e32 v10, v0
	s_branch .LBB30_81
.LBB30_80:                              ;   in Loop: Header=BB30_81 Depth=2
	v_add_u32_e32 v10, s4, v10
	v_cmp_le_i32_e32 vcc, s19, v10
	v_mov_b32_e32 v11, s67
	s_or_b64 s[78:79], vcc, s[78:79]
	v_add_co_u32_e32 v8, vcc, s66, v8
	v_addc_co_u32_e32 v9, vcc, v9, v11, vcc
	s_waitcnt vmcnt(0)
	global_store_dwordx2 v[12:13], v[16:17], off
	s_andn2_b64 exec, exec, s[78:79]
	s_cbranch_execz .LBB30_83
.LBB30_81:                              ;   Parent Loop BB30_4 Depth=1
                                        ; =>  This Loop Header: Depth=2
                                        ;       Child Loop BB30_82 Depth 3
	v_ashrrev_i32_e32 v11, 31, v10
	v_lshlrev_b64 v[12:13], 3, v[10:11]
	v_mov_b32_e32 v11, s55
	v_add_co_u32_e32 v12, vcc, s54, v12
	v_addc_co_u32_e32 v13, vcc, v11, v13, vcc
	global_load_dwordx2 v[16:17], v[12:13], off
	s_andn2_b64 vcc, exec, s[46:47]
	v_pk_mov_b32 v[14:15], v[8:9], v[8:9] op_sel:[0,1]
	s_mov_b64 s[80:81], s[74:75]
	s_mov_b64 s[82:83], s[72:73]
	s_mov_b32 s48, s21
	s_cbranch_vccnz .LBB30_80
.LBB30_82:                              ;   Parent Loop BB30_4 Depth=1
                                        ;     Parent Loop BB30_81 Depth=2
                                        ; =>    This Inner Loop Header: Depth=3
	global_load_dwordx2 v[18:19], v35, s[80:81]
	global_load_dwordx2 v[38:39], v[14:15], off
	global_load_dwordx2 v[40:41], v35, s[82:83]
	s_add_i32 s48, s48, -1
	s_waitcnt vmcnt(3)
	v_pk_mov_b32 v[42:43], v[16:17], v[16:17] op_sel:[0,1]
	s_add_u32 s82, s82, -8
	s_addc_u32 s83, s83, -1
	s_add_u32 s80, s80, -8
	v_mov_b32_e32 v11, s95
	s_addc_u32 s81, s81, -1
	s_cmp_lt_u32 s48, 3
	s_waitcnt vmcnt(2)
	v_mul_f64 v[44:45], v[42:43], v[18:19]
	s_waitcnt vmcnt(1)
	v_mul_f64 v[16:17], v[18:19], v[38:39]
	s_waitcnt vmcnt(0)
	v_fma_f64 v[18:19], v[40:41], v[38:39], -v[44:45]
	global_store_dwordx2 v[14:15], v[18:19], off
	v_add_co_u32_e32 v14, vcc, s94, v14
	v_fmac_f64_e32 v[16:17], v[42:43], v[40:41]
	v_addc_co_u32_e32 v15, vcc, v15, v11, vcc
	s_cbranch_scc0 .LBB30_82
	s_branch .LBB30_80
.LBB30_83:                              ;   in Loop: Header=BB30_4 Depth=1
	s_or_b64 exec, exec, s[76:77]
	s_mov_b64 s[76:77], 0
.LBB30_84:                              ;   in Loop: Header=BB30_4 Depth=1
	s_andn2_b64 vcc, exec, s[76:77]
	s_cbranch_vccnz .LBB30_3
; %bb.85:                               ;   in Loop: Header=BB30_4 Depth=1
	v_readlane_b32 s44, v37, 6
	v_readlane_b32 s45, v37, 7
	s_andn2_b64 vcc, exec, s[44:45]
	s_mov_b64 s[76:77], -1
	s_cbranch_vccnz .LBB30_92
; %bb.86:                               ;   in Loop: Header=BB30_4 Depth=1
	s_and_saveexec_b64 s[76:77], s[2:3]
	s_cbranch_execz .LBB30_91
; %bb.87:                               ;   in Loop: Header=BB30_4 Depth=1
	s_lshl_b64 s[44:45], s[62:63], 3
	s_add_u32 s48, s54, s44
	s_addc_u32 s49, s55, s45
	s_mov_b64 s[78:79], 0
	v_mov_b32_e32 v8, v0
	s_branch .LBB30_89
.LBB30_88:                              ;   in Loop: Header=BB30_89 Depth=2
	v_add_u32_e32 v8, s4, v8
	v_cmp_le_i32_e32 vcc, s19, v8
	v_mov_b32_e32 v9, s67
	s_or_b64 s[78:79], vcc, s[78:79]
	v_add_co_u32_e32 v4, vcc, s66, v4
	v_addc_co_u32_e32 v5, vcc, v5, v9, vcc
	s_waitcnt vmcnt(0)
	global_store_dwordx2 v[10:11], v[12:13], off
	s_andn2_b64 exec, exec, s[78:79]
	s_cbranch_execz .LBB30_91
.LBB30_89:                              ;   Parent Loop BB30_4 Depth=1
                                        ; =>  This Loop Header: Depth=2
                                        ;       Child Loop BB30_90 Depth 3
	v_ashrrev_i32_e32 v9, 31, v8
	v_lshlrev_b64 v[10:11], 3, v[8:9]
	v_mov_b32_e32 v9, s49
	v_add_co_u32_e32 v10, vcc, s48, v10
	v_addc_co_u32_e32 v11, vcc, v9, v11, vcc
	global_load_dwordx2 v[12:13], v[10:11], off
	s_andn2_b64 vcc, exec, s[46:47]
	v_pk_mov_b32 v[14:15], v[4:5], v[4:5] op_sel:[0,1]
	s_mov_b64 s[80:81], s[70:71]
	s_mov_b64 s[82:83], s[68:69]
	s_mov_b32 s50, s18
	s_cbranch_vccnz .LBB30_88
.LBB30_90:                              ;   Parent Loop BB30_4 Depth=1
                                        ;     Parent Loop BB30_89 Depth=2
                                        ; =>    This Inner Loop Header: Depth=3
	global_load_dwordx2 v[16:17], v[14:15], off
	global_load_dwordx2 v[18:19], v35, s[82:83]
	global_load_dwordx2 v[38:39], v35, s[80:81]
	s_add_i32 s50, s50, -1
	s_add_u32 s82, s82, 8
	s_addc_u32 s83, s83, 0
	s_add_u32 s80, s80, 8
	v_mov_b32_e32 v9, s65
	s_addc_u32 s81, s81, 0
	s_cmp_eq_u32 s50, 0
	s_waitcnt vmcnt(1)
	v_mul_f64 v[40:41], v[18:19], v[16:17]
	s_waitcnt vmcnt(0)
	v_fmac_f64_e32 v[40:41], v[12:13], v[38:39]
	v_mul_f64 v[16:17], v[38:39], v[16:17]
	global_store_dwordx2 v[14:15], v[40:41], off
	v_add_co_u32_e32 v14, vcc, s64, v14
	v_fma_f64 v[12:13], v[12:13], v[18:19], -v[16:17]
	v_addc_co_u32_e32 v15, vcc, v15, v9, vcc
	s_cbranch_scc0 .LBB30_90
	s_branch .LBB30_88
.LBB30_91:                              ;   in Loop: Header=BB30_4 Depth=1
	s_or_b64 exec, exec, s[76:77]
	s_mov_b64 s[76:77], 0
.LBB30_92:                              ;   in Loop: Header=BB30_4 Depth=1
	s_andn2_b64 vcc, exec, s[76:77]
	s_cbranch_vccnz .LBB30_3
; %bb.93:                               ;   in Loop: Header=BB30_4 Depth=1
	s_mov_b64 s[68:69], exec
	v_readlane_b32 s44, v37, 8
	v_readlane_b32 s45, v37, 9
	s_and_b64 s[44:45], s[68:69], s[44:45]
	s_mov_b64 exec, s[44:45]
	s_cbranch_execz .LBB30_2
; %bb.94:                               ;   in Loop: Header=BB30_4 Depth=1
	s_lshl_b64 s[44:45], s[62:63], 3
	s_add_u32 s48, s54, s44
	s_addc_u32 s49, s55, s45
	s_mov_b64 s[70:71], 0
	v_mov_b32_e32 v4, v0
	s_branch .LBB30_96
.LBB30_95:                              ;   in Loop: Header=BB30_96 Depth=2
	v_add_u32_e32 v4, s4, v4
	v_cmp_le_i32_e32 vcc, s19, v4
	v_mov_b32_e32 v5, s67
	s_or_b64 s[70:71], vcc, s[70:71]
	v_add_co_u32_e32 v6, vcc, s66, v6
	v_addc_co_u32_e32 v7, vcc, v7, v5, vcc
	s_waitcnt vmcnt(0)
	global_store_dwordx2 v[8:9], v[10:11], off
	s_andn2_b64 exec, exec, s[70:71]
	s_cbranch_execz .LBB30_2
.LBB30_96:                              ;   Parent Loop BB30_4 Depth=1
                                        ; =>  This Loop Header: Depth=2
                                        ;       Child Loop BB30_97 Depth 3
	v_ashrrev_i32_e32 v5, 31, v4
	v_lshlrev_b64 v[8:9], 3, v[4:5]
	v_mov_b32_e32 v5, s49
	v_add_co_u32_e32 v8, vcc, s48, v8
	v_addc_co_u32_e32 v9, vcc, v5, v9, vcc
	global_load_dwordx2 v[10:11], v[8:9], off
	s_andn2_b64 vcc, exec, s[46:47]
	v_pk_mov_b32 v[12:13], v[6:7], v[6:7] op_sel:[0,1]
	s_mov_b64 s[76:77], s[74:75]
	s_mov_b64 s[78:79], s[72:73]
	s_mov_b32 s50, s18
	s_cbranch_vccnz .LBB30_95
.LBB30_97:                              ;   Parent Loop BB30_4 Depth=1
                                        ;     Parent Loop BB30_96 Depth=2
                                        ; =>    This Inner Loop Header: Depth=3
	global_load_dwordx2 v[14:15], v[12:13], off
	global_load_dwordx2 v[16:17], v35, s[78:79]
	global_load_dwordx2 v[18:19], v35, s[76:77]
	s_add_i32 s50, s50, -1
	s_add_u32 s78, s78, -8
	s_addc_u32 s79, s79, -1
	s_add_u32 s76, s76, -8
	v_mov_b32_e32 v5, s95
	s_addc_u32 s77, s77, -1
	s_cmp_eq_u32 s50, 0
	s_waitcnt vmcnt(1)
	v_mul_f64 v[38:39], v[16:17], v[14:15]
	s_waitcnt vmcnt(0)
	v_fmac_f64_e32 v[38:39], v[10:11], v[18:19]
	v_mul_f64 v[14:15], v[18:19], v[14:15]
	global_store_dwordx2 v[12:13], v[38:39], off
	v_add_co_u32_e32 v12, vcc, s94, v12
	v_fma_f64 v[10:11], v[10:11], v[16:17], -v[14:15]
	v_addc_co_u32_e32 v13, vcc, v13, v5, vcc
	s_cbranch_scc0 .LBB30_97
	s_branch .LBB30_95
.LBB30_98:
	s_endpgm
	.section	.rodata,"a",@progbits
	.p2align	6, 0x0
	.amdhsa_kernel _ZN9rocsolver6v33100L11lasr_kernelIddPdiEEv13rocblas_side_14rocblas_pivot_15rocblas_direct_T2_S6_PT0_lS8_lT1_lS6_lS6_
		.amdhsa_group_segment_fixed_size 0
		.amdhsa_private_segment_fixed_size 0
		.amdhsa_kernarg_size 352
		.amdhsa_user_sgpr_count 6
		.amdhsa_user_sgpr_private_segment_buffer 1
		.amdhsa_user_sgpr_dispatch_ptr 0
		.amdhsa_user_sgpr_queue_ptr 0
		.amdhsa_user_sgpr_kernarg_segment_ptr 1
		.amdhsa_user_sgpr_dispatch_id 0
		.amdhsa_user_sgpr_flat_scratch_init 0
		.amdhsa_user_sgpr_kernarg_preload_length 0
		.amdhsa_user_sgpr_kernarg_preload_offset 0
		.amdhsa_user_sgpr_private_segment_size 0
		.amdhsa_uses_dynamic_stack 0
		.amdhsa_system_sgpr_private_segment_wavefront_offset 0
		.amdhsa_system_sgpr_workgroup_id_x 1
		.amdhsa_system_sgpr_workgroup_id_y 0
		.amdhsa_system_sgpr_workgroup_id_z 1
		.amdhsa_system_sgpr_workgroup_info 0
		.amdhsa_system_vgpr_workitem_id 0
		.amdhsa_next_free_vgpr 50
		.amdhsa_next_free_sgpr 96
		.amdhsa_accum_offset 52
		.amdhsa_reserve_vcc 1
		.amdhsa_reserve_flat_scratch 0
		.amdhsa_float_round_mode_32 0
		.amdhsa_float_round_mode_16_64 0
		.amdhsa_float_denorm_mode_32 3
		.amdhsa_float_denorm_mode_16_64 3
		.amdhsa_dx10_clamp 1
		.amdhsa_ieee_mode 1
		.amdhsa_fp16_overflow 0
		.amdhsa_tg_split 0
		.amdhsa_exception_fp_ieee_invalid_op 0
		.amdhsa_exception_fp_denorm_src 0
		.amdhsa_exception_fp_ieee_div_zero 0
		.amdhsa_exception_fp_ieee_overflow 0
		.amdhsa_exception_fp_ieee_underflow 0
		.amdhsa_exception_fp_ieee_inexact 0
		.amdhsa_exception_int_div_zero 0
	.end_amdhsa_kernel
	.section	.text._ZN9rocsolver6v33100L11lasr_kernelIddPdiEEv13rocblas_side_14rocblas_pivot_15rocblas_direct_T2_S6_PT0_lS8_lT1_lS6_lS6_,"axG",@progbits,_ZN9rocsolver6v33100L11lasr_kernelIddPdiEEv13rocblas_side_14rocblas_pivot_15rocblas_direct_T2_S6_PT0_lS8_lT1_lS6_lS6_,comdat
.Lfunc_end30:
	.size	_ZN9rocsolver6v33100L11lasr_kernelIddPdiEEv13rocblas_side_14rocblas_pivot_15rocblas_direct_T2_S6_PT0_lS8_lT1_lS6_lS6_, .Lfunc_end30-_ZN9rocsolver6v33100L11lasr_kernelIddPdiEEv13rocblas_side_14rocblas_pivot_15rocblas_direct_T2_S6_PT0_lS8_lT1_lS6_lS6_
                                        ; -- End function
	.section	.AMDGPU.csdata,"",@progbits
; Kernel info:
; codeLenInByte = 4628
; NumSgprs: 100
; NumVgprs: 50
; NumAgprs: 0
; TotalNumVgprs: 50
; ScratchSize: 0
; MemoryBound: 0
; FloatMode: 240
; IeeeMode: 1
; LDSByteSize: 0 bytes/workgroup (compile time only)
; SGPRBlocks: 12
; VGPRBlocks: 6
; NumSGPRsForWavesPerEU: 100
; NumVGPRsForWavesPerEU: 50
; AccumOffset: 52
; Occupancy: 8
; WaveLimiterHint : 0
; COMPUTE_PGM_RSRC2:SCRATCH_EN: 0
; COMPUTE_PGM_RSRC2:USER_SGPR: 6
; COMPUTE_PGM_RSRC2:TRAP_HANDLER: 0
; COMPUTE_PGM_RSRC2:TGID_X_EN: 1
; COMPUTE_PGM_RSRC2:TGID_Y_EN: 0
; COMPUTE_PGM_RSRC2:TGID_Z_EN: 1
; COMPUTE_PGM_RSRC2:TIDIG_COMP_CNT: 0
; COMPUTE_PGM_RSRC3_GFX90A:ACCUM_OFFSET: 12
; COMPUTE_PGM_RSRC3_GFX90A:TG_SPLIT: 0
	.section	.text._ZN9rocsolver6v33100L11swap_kernelIdiEEvT0_PT_S2_S4_S2_,"axG",@progbits,_ZN9rocsolver6v33100L11swap_kernelIdiEEvT0_PT_S2_S4_S2_,comdat
	.globl	_ZN9rocsolver6v33100L11swap_kernelIdiEEvT0_PT_S2_S4_S2_ ; -- Begin function _ZN9rocsolver6v33100L11swap_kernelIdiEEvT0_PT_S2_S4_S2_
	.p2align	8
	.type	_ZN9rocsolver6v33100L11swap_kernelIdiEEvT0_PT_S2_S4_S2_,@function
_ZN9rocsolver6v33100L11swap_kernelIdiEEvT0_PT_S2_S4_S2_: ; @_ZN9rocsolver6v33100L11swap_kernelIdiEEvT0_PT_S2_S4_S2_
; %bb.0:
	s_load_dword s16, s[4:5], 0x0
	s_waitcnt lgkmcnt(0)
	s_cmp_lt_i32 s16, 1
	s_cbranch_scc1 .LBB31_10
; %bb.1:
	s_load_dword s0, s[4:5], 0x28
	s_load_dword s1, s[4:5], 0x34
	s_load_dwordx2 s[2:3], s[4:5], 0x8
	s_load_dword s12, s[4:5], 0x10
	s_load_dwordx2 s[8:9], s[4:5], 0x18
	s_load_dword s10, s[4:5], 0x20
	s_waitcnt lgkmcnt(0)
	s_and_b32 s1, s1, 0xffff
	s_mul_i32 s6, s6, s1
	s_cmp_eq_u32 s12, 1
	s_mul_i32 s4, s0, s1
	s_cselect_b64 s[0:1], -1, 0
	s_cmp_eq_u32 s10, 1
	v_add_u32_e32 v0, s6, v0
	s_cselect_b64 s[6:7], -1, 0
	s_and_b64 s[14:15], s[0:1], s[6:7]
	v_cmp_gt_i32_e64 s[0:1], s16, v0
	s_mov_b64 s[6:7], -1
	s_and_b64 vcc, exec, s[14:15]
	s_cbranch_vccnz .LBB31_6
; %bb.2:
	s_and_saveexec_b64 s[6:7], s[0:1]
	s_cbranch_execz .LBB31_5
; %bb.3:
	v_mad_i64_i32 v[2:3], s[14:15], s10, v0, 0
	v_lshlrev_b64 v[2:3], 3, v[2:3]
	v_mov_b32_e32 v1, s9
	v_add_co_u32_e32 v2, vcc, s8, v2
	v_mad_i64_i32 v[4:5], s[14:15], s12, v0, 0
	v_addc_co_u32_e32 v3, vcc, v1, v3, vcc
	s_mul_hi_i32 s11, s10, s4
	s_mul_i32 s10, s10, s4
	v_lshlrev_b64 v[4:5], 3, v[4:5]
	s_mul_hi_i32 s13, s12, s4
	s_mul_i32 s12, s12, s4
	s_lshl_b64 s[10:11], s[10:11], 3
	v_mov_b32_e32 v1, s3
	v_add_co_u32_e32 v4, vcc, s2, v4
	s_lshl_b64 s[12:13], s[12:13], 3
	v_addc_co_u32_e32 v5, vcc, v1, v5, vcc
	s_mov_b64 s[14:15], 0
	v_mov_b32_e32 v1, s11
	v_mov_b32_e32 v6, s13
	;; [unrolled: 1-line block ×3, first 2 shown]
.LBB31_4:                               ; =>This Inner Loop Header: Depth=1
	global_load_dwordx2 v[8:9], v[4:5], off
	global_load_dwordx2 v[10:11], v[2:3], off
	v_add_u32_e32 v7, s4, v7
	v_cmp_le_i32_e32 vcc, s16, v7
	s_or_b64 s[14:15], vcc, s[14:15]
	s_waitcnt vmcnt(1)
	global_store_dwordx2 v[2:3], v[8:9], off
	s_waitcnt vmcnt(1)
	global_store_dwordx2 v[4:5], v[10:11], off
	v_add_co_u32_e32 v2, vcc, s10, v2
	v_addc_co_u32_e32 v3, vcc, v3, v1, vcc
	v_add_co_u32_e32 v4, vcc, s12, v4
	v_addc_co_u32_e32 v5, vcc, v5, v6, vcc
	s_andn2_b64 exec, exec, s[14:15]
	s_cbranch_execnz .LBB31_4
.LBB31_5:
	s_or_b64 exec, exec, s[6:7]
	s_mov_b64 s[6:7], 0
.LBB31_6:
	s_andn2_b64 vcc, exec, s[6:7]
	s_cbranch_vccnz .LBB31_10
; %bb.7:
	s_and_saveexec_b64 s[6:7], s[0:1]
	s_cbranch_execz .LBB31_10
; %bb.8:
	s_ashr_i32 s5, s4, 31
	v_ashrrev_i32_e32 v1, 31, v0
	s_lshl_b64 s[0:1], s[4:5], 3
	v_lshlrev_b64 v[2:3], 3, v[0:1]
	s_mov_b64 s[6:7], 0
	v_mov_b32_e32 v1, s9
	v_mov_b32_e32 v4, s3
	;; [unrolled: 1-line block ×3, first 2 shown]
.LBB31_9:                               ; =>This Inner Loop Header: Depth=1
	v_add_co_u32_e32 v6, vcc, s8, v2
	v_addc_co_u32_e32 v7, vcc, v1, v3, vcc
	v_add_co_u32_e32 v8, vcc, s2, v2
	v_addc_co_u32_e32 v9, vcc, v4, v3, vcc
	global_load_dwordx2 v[10:11], v[8:9], off
	global_load_dwordx2 v[12:13], v[6:7], off
	v_add_co_u32_e32 v2, vcc, s0, v2
	v_add_u32_e32 v0, s4, v0
	v_addc_co_u32_e32 v3, vcc, v3, v5, vcc
	v_cmp_le_i32_e32 vcc, s16, v0
	s_or_b64 s[6:7], vcc, s[6:7]
	s_waitcnt vmcnt(1)
	global_store_dwordx2 v[6:7], v[10:11], off
	s_waitcnt vmcnt(1)
	global_store_dwordx2 v[8:9], v[12:13], off
	s_andn2_b64 exec, exec, s[6:7]
	s_cbranch_execnz .LBB31_9
.LBB31_10:
	s_endpgm
	.section	.rodata,"a",@progbits
	.p2align	6, 0x0
	.amdhsa_kernel _ZN9rocsolver6v33100L11swap_kernelIdiEEvT0_PT_S2_S4_S2_
		.amdhsa_group_segment_fixed_size 0
		.amdhsa_private_segment_fixed_size 0
		.amdhsa_kernarg_size 296
		.amdhsa_user_sgpr_count 6
		.amdhsa_user_sgpr_private_segment_buffer 1
		.amdhsa_user_sgpr_dispatch_ptr 0
		.amdhsa_user_sgpr_queue_ptr 0
		.amdhsa_user_sgpr_kernarg_segment_ptr 1
		.amdhsa_user_sgpr_dispatch_id 0
		.amdhsa_user_sgpr_flat_scratch_init 0
		.amdhsa_user_sgpr_kernarg_preload_length 0
		.amdhsa_user_sgpr_kernarg_preload_offset 0
		.amdhsa_user_sgpr_private_segment_size 0
		.amdhsa_uses_dynamic_stack 0
		.amdhsa_system_sgpr_private_segment_wavefront_offset 0
		.amdhsa_system_sgpr_workgroup_id_x 1
		.amdhsa_system_sgpr_workgroup_id_y 0
		.amdhsa_system_sgpr_workgroup_id_z 0
		.amdhsa_system_sgpr_workgroup_info 0
		.amdhsa_system_vgpr_workitem_id 0
		.amdhsa_next_free_vgpr 14
		.amdhsa_next_free_sgpr 17
		.amdhsa_accum_offset 16
		.amdhsa_reserve_vcc 1
		.amdhsa_reserve_flat_scratch 0
		.amdhsa_float_round_mode_32 0
		.amdhsa_float_round_mode_16_64 0
		.amdhsa_float_denorm_mode_32 3
		.amdhsa_float_denorm_mode_16_64 3
		.amdhsa_dx10_clamp 1
		.amdhsa_ieee_mode 1
		.amdhsa_fp16_overflow 0
		.amdhsa_tg_split 0
		.amdhsa_exception_fp_ieee_invalid_op 0
		.amdhsa_exception_fp_denorm_src 0
		.amdhsa_exception_fp_ieee_div_zero 0
		.amdhsa_exception_fp_ieee_overflow 0
		.amdhsa_exception_fp_ieee_underflow 0
		.amdhsa_exception_fp_ieee_inexact 0
		.amdhsa_exception_int_div_zero 0
	.end_amdhsa_kernel
	.section	.text._ZN9rocsolver6v33100L11swap_kernelIdiEEvT0_PT_S2_S4_S2_,"axG",@progbits,_ZN9rocsolver6v33100L11swap_kernelIdiEEvT0_PT_S2_S4_S2_,comdat
.Lfunc_end31:
	.size	_ZN9rocsolver6v33100L11swap_kernelIdiEEvT0_PT_S2_S4_S2_, .Lfunc_end31-_ZN9rocsolver6v33100L11swap_kernelIdiEEvT0_PT_S2_S4_S2_
                                        ; -- End function
	.section	.AMDGPU.csdata,"",@progbits
; Kernel info:
; codeLenInByte = 460
; NumSgprs: 21
; NumVgprs: 14
; NumAgprs: 0
; TotalNumVgprs: 14
; ScratchSize: 0
; MemoryBound: 0
; FloatMode: 240
; IeeeMode: 1
; LDSByteSize: 0 bytes/workgroup (compile time only)
; SGPRBlocks: 2
; VGPRBlocks: 1
; NumSGPRsForWavesPerEU: 21
; NumVGPRsForWavesPerEU: 14
; AccumOffset: 16
; Occupancy: 8
; WaveLimiterHint : 0
; COMPUTE_PGM_RSRC2:SCRATCH_EN: 0
; COMPUTE_PGM_RSRC2:USER_SGPR: 6
; COMPUTE_PGM_RSRC2:TRAP_HANDLER: 0
; COMPUTE_PGM_RSRC2:TGID_X_EN: 1
; COMPUTE_PGM_RSRC2:TGID_Y_EN: 0
; COMPUTE_PGM_RSRC2:TGID_Z_EN: 0
; COMPUTE_PGM_RSRC2:TIDIG_COMP_CNT: 0
; COMPUTE_PGM_RSRC3_GFX90A:ACCUM_OFFSET: 3
; COMPUTE_PGM_RSRC3_GFX90A:TG_SPLIT: 0
	.text
	.p2align	2                               ; -- Begin function _ZN9rocsolver6v331009run_steqrIddEEviiiPT0_S3_PT_iPiS3_iS2_S2_S2_b
	.type	_ZN9rocsolver6v331009run_steqrIddEEviiiPT0_S3_PT_iPiS3_iS2_S2_S2_b,@function
_ZN9rocsolver6v331009run_steqrIddEEviiiPT0_S3_PT_iPiS3_iS2_S2_S2_b: ; @_ZN9rocsolver6v331009run_steqrIddEEviiiPT0_S3_PT_iPiS3_iS2_S2_S2_b
; %bb.0:
	s_waitcnt vmcnt(0) expcnt(0) lgkmcnt(0)
	s_or_saveexec_b64 s[4:5], -1
	buffer_store_dword v63, off, s[0:3], s32 offset:120 ; 4-byte Folded Spill
	s_mov_b64 exec, s[4:5]
	buffer_store_dword v40, off, s[0:3], s32 offset:108 ; 4-byte Folded Spill
	buffer_store_dword v41, off, s[0:3], s32 offset:104 ; 4-byte Folded Spill
	;; [unrolled: 1-line block ×27, first 2 shown]
	buffer_store_dword a45, off, s[0:3], s32 ; 4-byte Folded Spill
	v_writelane_b32 v63, s34, 0
	v_writelane_b32 v63, s35, 1
	;; [unrolled: 1-line block ×19, first 2 shown]
	v_mov_b32_e32 v24, v1
	v_and_b32_e32 v1, 1, v21
	v_accvgpr_write_b32 a17, v20
	v_accvgpr_write_b32 a16, v19
	;; [unrolled: 1-line block ×9, first 2 shown]
	v_mov_b32_e32 v20, v9
	v_accvgpr_write_b32 a6, v8
	v_accvgpr_write_b32 a7, v7
	v_mov_b32_e32 v7, v3
	s_mov_b32 s10, s15
	v_cmp_eq_u32_e64 s[6:7], 1, v1
	v_cmp_eq_u32_e64 s[8:9], 0, v0
	v_mov_b32_e32 v8, v0
	v_cmp_ne_u32_e64 s[4:5], 0, v0
	s_mul_hi_i32 s14, s15, 36
	s_mul_i32 s15, s15, 36
                                        ; implicit-def: $sgpr17
                                        ; implicit-def: $sgpr16
	s_and_saveexec_b64 s[12:13], s[4:5]
	s_xor_b64 s[12:13], exec, s[12:13]
	s_cbranch_execz .LBB32_2
; %bb.1:
	s_ashr_i32 s11, s10, 31
	s_getpc_b64 s[16:17]
	s_add_u32 s16, s16, llvm.amdgcn.lds.offset.table@rel32@lo+16
	s_addc_u32 s17, s17, llvm.amdgcn.lds.offset.table@rel32@hi+24
	s_add_u32 s18, s15, s16
	s_addc_u32 s19, s14, s17
	s_getpc_b64 s[16:17]
	s_add_u32 s16, s16, llvm.amdgcn.lds.offset.table@rel32@lo+32
	s_addc_u32 s17, s17, llvm.amdgcn.lds.offset.table@rel32@hi+40
	s_add_u32 s20, s15, s16
	s_addc_u32 s21, s14, s17
	s_load_dword s16, s[18:19], 0x0
	s_load_dword s17, s[20:21], 0x0
.LBB32_2:
	s_or_saveexec_b64 s[12:13], s[12:13]
	v_accvgpr_write_b32 a13, v11
	v_accvgpr_write_b32 a12, v10
	s_waitcnt lgkmcnt(0)
	v_mov_b32_e32 v1, s17
	v_mov_b32_e32 v3, s16
	v_pk_mov_b32 v[10:11], s[10:11], s[10:11] op_sel:[0,1]
	s_xor_b64 exec, exec, s[12:13]
	s_cbranch_execz .LBB32_4
; %bb.3:
	s_ashr_i32 s11, s10, 31
	s_getpc_b64 s[16:17]
	s_add_u32 s16, s16, llvm.amdgcn.lds.offset.table@rel32@lo+16
	s_addc_u32 s17, s17, llvm.amdgcn.lds.offset.table@rel32@hi+24
	s_add_u32 s16, s15, s16
	s_addc_u32 s17, s14, s17
	s_getpc_b64 s[18:19]
	s_add_u32 s18, s18, llvm.amdgcn.lds.offset.table@rel32@lo+32
	s_addc_u32 s19, s19, llvm.amdgcn.lds.offset.table@rel32@hi+40
	s_add_u32 s18, s15, s18
	s_load_dword s15, s[16:17], 0x0
	s_addc_u32 s19, s14, s19
	s_load_dword s14, s[18:19], 0x0
	v_mov_b32_e32 v0, 0
	v_pk_mov_b32 v[10:11], s[10:11], s[10:11] op_sel:[0,1]
	s_waitcnt lgkmcnt(0)
	v_mov_b32_e32 v1, s15
	ds_write_b32 v1, v0
	v_mov_b32_e32 v1, s14
	v_mov_b32_e32 v3, s15
	ds_write_b32 v1, v0
.LBB32_4:
	s_or_b64 exec, exec, s[12:13]
	s_waitcnt lgkmcnt(0)
	s_barrier
	s_getpc_b64 s[10:11]
	s_add_u32 s10, s10, llvm.amdgcn.lds.offset.table@rel32@lo+4
	s_addc_u32 s11, s11, llvm.amdgcn.lds.offset.table@rel32@hi+12
	v_accvgpr_write_b32 a27, v3
	ds_read_b32 v16, v3
	ds_read_b32 v3, v1
	v_mad_u64_u32 v[32:33], s[10:11], v10, 36, s[10:11]
	v_mov_b32_e32 v0, v33
	v_accvgpr_write_b32 a26, v1
	v_mad_u64_u32 v[0:1], s[10:11], v11, 36, v[0:1]
	v_mov_b32_e32 v33, v0
	v_accvgpr_read_b32 v0, a9
	v_ashrrev_i32_e32 v9, 31, v8
	s_waitcnt lgkmcnt(1)
	v_cmp_lt_i32_e32 vcc, v16, v2
	s_waitcnt lgkmcnt(0)
	v_cmp_lt_i32_e64 s[10:11], v3, v0
	v_add_u32_e32 v0, -1, v2
	v_accvgpr_write_b32 a15, v9
	s_and_b64 s[10:11], vcc, s[10:11]
	v_accvgpr_write_b32 a24, v0
	v_ashrrev_i32_e32 v25, 31, v24
	v_accvgpr_write_b32 a14, v8
	s_and_saveexec_b64 s[16:17], s[10:11]
	s_cbranch_execz .LBB32_234
; %bb.5:
	v_add_co_u32_e32 v0, vcc, -8, v5
	v_accvgpr_write_b32 a28, v0
	v_addc_co_u32_e32 v0, vcc, -1, v6, vcc
	v_accvgpr_write_b32 a29, v0
	v_accvgpr_read_b32 v0, a23
	v_add_co_u32_e32 v0, vcc, -8, v0
	v_accvgpr_read_b32 v8, a24
	v_accvgpr_write_b32 a30, v0
	v_accvgpr_read_b32 v0, a22
	v_ashrrev_i32_e32 v9, 31, v8
	v_addc_co_u32_e32 v0, vcc, -1, v0, vcc
	v_accvgpr_write_b32 a25, v9
	v_accvgpr_write_b32 a31, v0
	v_accvgpr_read_b32 v0, a20
	v_accvgpr_write_b32 a24, v8
	v_lshlrev_b64 v[8:9], 3, v[8:9]
	v_accvgpr_read_b32 v1, a21
	v_accvgpr_write_b32 a33, v9
	v_mul_f64 v[34:35], v[0:1], v[0:1]
	v_accvgpr_read_b32 v0, a14
	v_accvgpr_write_b32 a32, v8
	v_add_co_u32_e32 v8, vcc, -8, v7
	v_accvgpr_read_b32 v1, a15
	v_accvgpr_write_b32 a34, v8
	v_addc_co_u32_e32 v8, vcc, -1, v4, vcc
	v_cmp_lt_i32_e64 s[10:11], v0, v2
	v_accvgpr_write_b32 a35, v8
	v_lshlrev_b64 v[0:1], 3, v[0:1]
	v_accvgpr_read_b32 v8, a7
	v_add_co_u32_e32 v0, vcc, v8, v0
	v_ashrrev_i32_e32 v21, 31, v20
	v_accvgpr_write_b32 a36, v0
	v_accvgpr_read_b32 v0, a6
	v_addc_co_u32_e32 v0, vcc, v0, v1, vcc
	v_lshlrev_b64 v[48:49], 3, v[20:21]
	v_ashrrev_i32_e32 v3, 31, v2
	v_sub_co_u32_e32 v62, vcc, 0, v48
	v_accvgpr_write_b32 a37, v0
	v_subb_co_u32_e32 v50, vcc, 0, v49, vcc
	v_lshlrev_b64 v[0:1], 3, v[2:3]
	v_add_co_u32_e32 v3, vcc, -8, v0
	s_mov_b32 s20, 0
	s_mov_b32 s22, 0x667f3bcd
	v_accvgpr_write_b32 a10, v32
	v_lshlrev_b64 v[36:37], 3, v[24:25]
	s_mov_b64 s[18:19], 0
	v_addc_co_u32_e32 v51, vcc, -1, v1, vcc
	v_mov_b32_e32 v0, 0
	s_brev_b32 s21, 8
	s_mov_b32 s23, 0x3ff6a09e
	v_accvgpr_mov_b32 a38, a26
	v_accvgpr_write_b32 a8, v4
	v_accvgpr_write_b32 a11, v33
	buffer_store_dword v0, off, s[0:3], s32 offset:112 ; 4-byte Folded Spill
	s_nop 0
	buffer_store_dword v1, off, s[0:3], s32 offset:116 ; 4-byte Folded Spill
                                        ; implicit-def: $agpr40_agpr41
                                        ; implicit-def: $vgpr56_vgpr57
                                        ; implicit-def: $agpr0_agpr1
                                        ; implicit-def: $vgpr8
                                        ; implicit-def: $vgpr40_vgpr41
                                        ; implicit-def: $agpr2_agpr3
                                        ; implicit-def: $vgpr9
                                        ; implicit-def: $vgpr42_vgpr43
                                        ; implicit-def: $agpr4_agpr5
	s_branch .LBB32_8
.LBB32_6:                               ;   in Loop: Header=BB32_8 Depth=1
	s_or_b64 exec, exec, s[12:13]
	v_accvgpr_read_b32 v12, a38
	v_accvgpr_read_b32 v1, a38
	s_waitcnt lgkmcnt(0)
	s_barrier
.LBB32_7:                               ;   in Loop: Header=BB32_8 Depth=1
	s_or_b64 exec, exec, s[24:25]
	v_accvgpr_read_b32 v0, a27
	ds_read_b32 v16, v0
	ds_read_b32 v0, v12
	v_accvgpr_read_b32 v10, a9
	v_accvgpr_write_b32 a38, v1
	s_waitcnt lgkmcnt(0)
	v_cmp_ge_i32_e32 vcc, v16, v2
	v_cmp_ge_i32_e64 s[12:13], v0, v10
	s_or_b64 s[12:13], vcc, s[12:13]
	s_and_b64 s[12:13], exec, s[12:13]
	s_or_b64 s[18:19], s[12:13], s[18:19]
	s_andn2_b64 exec, exec, s[18:19]
	s_cbranch_execz .LBB32_234
.LBB32_8:                               ; =>This Loop Header: Depth=1
                                        ;     Child Loop BB32_129 Depth 2
                                        ;     Child Loop BB32_23 Depth 2
	;; [unrolled: 1-line block ×5, first 2 shown]
                                        ;       Child Loop BB32_84 Depth 3
                                        ;       Child Loop BB32_69 Depth 3
                                        ;       Child Loop BB32_122 Depth 3
                                        ;         Child Loop BB32_124 Depth 4
                                        ;     Child Loop BB32_140 Depth 2
                                        ;       Child Loop BB32_177 Depth 3
                                        ;       Child Loop BB32_162 Depth 3
	;; [unrolled: 1-line block ×3, first 2 shown]
                                        ;         Child Loop BB32_217 Depth 4
                                        ;     Child Loop BB32_227 Depth 2
                                        ;     Child Loop BB32_233 Depth 2
                                        ; implicit-def: $vgpr0
                                        ; implicit-def: $agpr42
	s_and_saveexec_b64 s[12:13], s[4:5]
	s_xor_b64 s[12:13], exec, s[12:13]
	s_cbranch_execz .LBB32_10
; %bb.9:                                ;   in Loop: Header=BB32_8 Depth=1
	global_load_dwordx2 a[42:43], v[32:33], off offset:20
	global_load_dword v0, v[32:33], off
                                        ; implicit-def: $vgpr16
.LBB32_10:                              ;   in Loop: Header=BB32_8 Depth=1
	s_andn2_saveexec_b64 s[14:15], s[12:13]
	s_cbranch_execz .LBB32_26
; %bb.11:                               ;   in Loop: Header=BB32_8 Depth=1
	v_cmp_lt_i32_e32 vcc, 0, v16
	s_and_saveexec_b64 s[12:13], vcc
	s_cbranch_execz .LBB32_13
; %bb.12:                               ;   in Loop: Header=BB32_8 Depth=1
	buffer_load_dword v0, off, s[0:3], s32 offset:112 ; 4-byte Folded Reload
	buffer_load_dword v1, off, s[0:3], s32 offset:116 ; 4-byte Folded Reload
	v_accvgpr_read_b32 v10, a28
	s_waitcnt vmcnt(0)
	v_mov_b32_e32 v17, v0
	v_mov_b32_e32 v12, v0
	s_waitcnt vmcnt(0)
	v_lshlrev_b64 v[0:1], 3, v[16:17]
	v_add_co_u32_e32 v0, vcc, v10, v0
	v_accvgpr_read_b32 v10, a29
	v_addc_co_u32_e32 v1, vcc, v10, v1, vcc
	v_mov_b32_e32 v13, v12
	v_mov_b32_e32 v10, v12
	buffer_store_dword v10, off, s[0:3], s32 offset:112 ; 4-byte Folded Spill
	s_nop 0
	buffer_store_dword v11, off, s[0:3], s32 offset:116 ; 4-byte Folded Spill
	flat_store_dwordx2 v[0:1], v[12:13]
.LBB32_13:                              ;   in Loop: Header=BB32_8 Depth=1
	s_or_b64 exec, exec, s[12:13]
	s_waitcnt vmcnt(0)
	v_accvgpr_read_b32 v0, a24
	v_cmp_ge_i32_e32 vcc, v16, v0
	s_mov_b64 s[12:13], 0
	v_ashrrev_i32_e32 v17, 31, v16
	s_mov_b64 s[24:25], 0
	v_accvgpr_read_b32 v1, a25
                                        ; implicit-def: $vgpr12_vgpr13
	s_and_saveexec_b64 s[26:27], vcc
	s_xor_b64 s[26:27], exec, s[26:27]
; %bb.14:                               ;   in Loop: Header=BB32_8 Depth=1
	s_mov_b64 s[24:25], exec
	v_pk_mov_b32 v[12:13], v[16:17], v[16:17] op_sel:[0,1]
; %bb.15:                               ;   in Loop: Header=BB32_8 Depth=1
	s_or_saveexec_b64 s[26:27], s[26:27]
	v_mov_b32_e32 v1, v16
	v_pk_mov_b32 v[18:19], v[12:13], v[12:13] op_sel:[0,1]
	s_xor_b64 exec, exec, s[26:27]
	s_cbranch_execnz .LBB32_127
; %bb.16:                               ;   in Loop: Header=BB32_8 Depth=1
	s_or_b64 exec, exec, s[26:27]
	s_and_saveexec_b64 s[26:27], s[24:25]
	s_cbranch_execnz .LBB32_132
.LBB32_17:                              ;   in Loop: Header=BB32_8 Depth=1
	s_or_b64 exec, exec, s[26:27]
	s_and_saveexec_b64 s[24:25], s[12:13]
	s_cbranch_execz .LBB32_19
.LBB32_18:                              ;   in Loop: Header=BB32_8 Depth=1
	global_load_dword v0, v[32:33], off offset:4
	buffer_load_dword v10, off, s[0:3], s32 offset:112 ; 4-byte Folded Reload
	buffer_load_dword v11, off, s[0:3], s32 offset:116 ; 4-byte Folded Reload
	v_accvgpr_read_b32 v19, a1
	v_accvgpr_read_b32 v22, a40
	;; [unrolled: 1-line block ×5, first 2 shown]
	v_mov_b32_e32 v1, v22
	v_accvgpr_read_b32 v23, a41
	s_waitcnt vmcnt(0)
	v_mov_b32_e32 v14, v10
	v_mov_b32_e32 v15, v10
	buffer_store_dword v10, off, s[0:3], s32 offset:112 ; 4-byte Folded Spill
	s_nop 0
	buffer_store_dword v11, off, s[0:3], s32 offset:116 ; 4-byte Folded Spill
	flat_store_dwordx2 v[56:57], v[14:15]
	ds_write_b32 v0, v22
.LBB32_19:                              ;   in Loop: Header=BB32_8 Depth=1
	s_or_b64 exec, exec, s[24:25]
	v_lshlrev_b64 v[12:13], 3, v[12:13]
	v_add_co_u32_e32 v12, vcc, v7, v12
	v_addc_co_u32_e32 v13, vcc, v4, v13, vcc
	v_lshlrev_b64 v[18:19], 3, v[18:19]
	global_load_dword v0, v[32:33], off
	global_load_dwordx2 v[10:11], v[32:33], off offset:16
	global_load_dword v17, v[32:33], off offset:32
	flat_load_dwordx2 v[14:15], v[12:13]
	v_add_co_u32_e32 v12, vcc, v7, v18
	v_addc_co_u32_e32 v13, vcc, v4, v19, vcc
	flat_load_dwordx2 v[26:27], v[12:13]
	s_waitcnt vmcnt(0)
	ds_write_b32 v0, v16
	ds_write_b32 v10, v16
	;; [unrolled: 1-line block ×4, first 2 shown]
	v_add_u32_e32 v10, 1, v1
	v_accvgpr_read_b32 v17, a27
	ds_write_b32 v17, v10
	s_waitcnt lgkmcnt(0)
	v_cmp_lt_f64_e64 s[24:25], |v[14:15]|, |v[26:27]|
	s_and_saveexec_b64 s[12:13], s[24:25]
	s_cbranch_execz .LBB32_21
; %bb.20:                               ;   in Loop: Header=BB32_8 Depth=1
	ds_write_b32 v11, v16
	ds_write_b32 v0, v1
.LBB32_21:                              ;   in Loop: Header=BB32_8 Depth=1
	s_or_b64 exec, exec, s[12:13]
	v_and_b32_e32 v15, 0x7fffffff, v15
	v_cmp_lt_i32_e32 vcc, v16, v1
	s_and_saveexec_b64 s[12:13], vcc
	s_cbranch_execz .LBB32_25
; %bb.22:                               ;   in Loop: Header=BB32_8 Depth=1
	v_add_co_u32_e32 v18, vcc, v5, v18
	v_addc_co_u32_e32 v19, vcc, v6, v19, vcc
	s_mov_b64 s[24:25], 0
.LBB32_23:                              ;   Parent Loop BB32_8 Depth=1
                                        ; =>  This Inner Loop Header: Depth=2
	flat_load_dwordx2 v[26:27], v[18:19]
	flat_load_dwordx2 v[28:29], v[12:13]
	v_add_co_u32_e32 v18, vcc, 8, v18
	v_addc_co_u32_e32 v19, vcc, 0, v19, vcc
	v_add_co_u32_e32 v12, vcc, 8, v12
	v_add_u32_e32 v16, 1, v16
	v_addc_co_u32_e32 v13, vcc, 0, v13, vcc
	v_max_f64 v[14:15], v[14:15], v[14:15]
	v_cmp_ge_i32_e32 vcc, v16, v1
	s_or_b64 s[24:25], vcc, s[24:25]
	s_waitcnt vmcnt(0) lgkmcnt(0)
	v_max_f64 v[26:27], |v[26:27]|, |v[26:27]|
	v_max_f64 v[28:29], |v[28:29]|, |v[28:29]|
	v_max_f64 v[26:27], v[28:29], v[26:27]
	v_max_f64 v[14:15], v[14:15], v[26:27]
	s_andn2_b64 exec, exec, s[24:25]
	s_cbranch_execnz .LBB32_23
; %bb.24:                               ;   in Loop: Header=BB32_8 Depth=1
	s_or_b64 exec, exec, s[24:25]
.LBB32_25:                              ;   in Loop: Header=BB32_8 Depth=1
	s_or_b64 exec, exec, s[12:13]
	global_load_dword v13, v[32:33], off offset:24
	v_mov_b32_e32 v12, v11
	s_waitcnt vmcnt(0)
	v_accvgpr_write_b32 a43, v13
	v_accvgpr_write_b32 a42, v12
	ds_write_b64 v13, v[14:15]
.LBB32_26:                              ;   in Loop: Header=BB32_8 Depth=1
	s_or_b64 exec, exec, s[14:15]
	s_waitcnt vmcnt(0)
	v_accvgpr_read_b32 v10, a42
	v_accvgpr_read_b32 v11, a43
	s_waitcnt lgkmcnt(0)
	s_barrier
	ds_read_b32 v1, v10
	s_waitcnt vmcnt(0)
	ds_read_b32 v12, v0
	ds_read_b64 v[10:11], v11
	s_waitcnt lgkmcnt(1)
	v_cmp_ne_u32_e32 vcc, v1, v12
	s_waitcnt lgkmcnt(0)
	v_cmp_neq_f64_e64 s[12:13], 0, v[10:11]
	s_and_b64 s[12:13], vcc, s[12:13]
	v_accvgpr_read_b32 v12, a26
	v_accvgpr_read_b32 v1, a26
	s_and_saveexec_b64 s[24:25], s[12:13]
	s_cbranch_execz .LBB32_7
; %bb.27:                               ;   in Loop: Header=BB32_8 Depth=1
	v_accvgpr_read_b32 v12, a16
	v_accvgpr_read_b32 v13, a17
	v_cmp_ngt_f64_e32 vcc, v[10:11], v[12:13]
	s_and_saveexec_b64 s[12:13], vcc
	s_xor_b64 s[12:13], exec, s[12:13]
	s_cbranch_execz .LBB32_35
; %bb.28:                               ;   in Loop: Header=BB32_8 Depth=1
	v_accvgpr_read_b32 v12, a18
	v_accvgpr_read_b32 v13, a19
	v_cmp_lt_f64_e32 vcc, v[10:11], v[12:13]
	s_and_saveexec_b64 s[14:15], vcc
	s_cbranch_execz .LBB32_34
; %bb.29:                               ;   in Loop: Header=BB32_8 Depth=1
	global_load_dword v1, v[32:33], off offset:16
	global_load_dword v22, v[32:33], off offset:32
	v_accvgpr_read_b32 v29, a19
	v_accvgpr_read_b32 v28, a18
	v_div_scale_f64 v[14:15], s[26:27], v[28:29], v[28:29], v[10:11]
	v_rcp_f64_e32 v[16:17], v[14:15]
	v_div_scale_f64 v[18:19], vcc, v[10:11], v[28:29], v[10:11]
	v_fma_f64 v[12:13], -v[14:15], v[16:17], 1.0
	v_fmac_f64_e32 v[16:17], v[16:17], v[12:13]
	v_fma_f64 v[12:13], -v[14:15], v[16:17], 1.0
	v_fmac_f64_e32 v[16:17], v[16:17], v[12:13]
	v_mul_f64 v[26:27], v[18:19], v[16:17]
	v_fma_f64 v[14:15], -v[14:15], v[26:27], v[18:19]
	v_div_fmas_f64 v[14:15], v[14:15], v[16:17], v[26:27]
	v_div_fixup_f64 v[10:11], v[14:15], v[28:29], v[10:11]
	s_waitcnt vmcnt(1)
	ds_read_b32 v1, v1
	s_waitcnt vmcnt(0)
	ds_read_b32 v12, v22
	s_and_saveexec_b64 s[26:27], s[8:9]
	s_cbranch_execz .LBB32_31
; %bb.30:                               ;   in Loop: Header=BB32_8 Depth=1
	s_waitcnt lgkmcnt(0)
	v_ashrrev_i32_e32 v13, 31, v12
	v_lshlrev_b64 v[14:15], 3, v[12:13]
	v_add_co_u32_e32 v14, vcc, v7, v14
	v_addc_co_u32_e32 v15, vcc, v4, v15, vcc
	flat_load_dwordx2 v[16:17], v[14:15]
	s_waitcnt vmcnt(0) lgkmcnt(0)
	v_mul_f64 v[16:17], v[10:11], v[16:17]
	flat_store_dwordx2 v[14:15], v[16:17]
.LBB32_31:                              ;   in Loop: Header=BB32_8 Depth=1
	s_or_b64 exec, exec, s[26:27]
	v_accvgpr_read_b32 v14, a14
	s_waitcnt lgkmcnt(0)
	v_add_u32_e32 v14, v1, v14
	v_cmp_lt_i32_e32 vcc, v14, v12
	v_accvgpr_read_b32 v15, a15
	s_and_b64 exec, exec, vcc
	s_cbranch_execz .LBB32_34
; %bb.32:                               ;   in Loop: Header=BB32_8 Depth=1
	v_ashrrev_i32_e32 v15, 31, v14
	v_lshlrev_b64 v[16:17], 3, v[14:15]
	s_mov_b64 s[26:27], 0
.LBB32_33:                              ;   Parent Loop BB32_8 Depth=1
                                        ; =>  This Inner Loop Header: Depth=2
	v_add_co_u32_e32 v18, vcc, v7, v16
	v_addc_co_u32_e32 v19, vcc, v4, v17, vcc
	flat_load_dwordx2 v[26:27], v[18:19]
	v_add_co_u32_e32 v28, vcc, v5, v16
	v_addc_co_u32_e32 v29, vcc, v6, v17, vcc
	v_add_co_u32_e32 v16, vcc, v16, v36
	v_add_u32_e32 v14, v14, v24
	v_addc_co_u32_e32 v17, vcc, v17, v37, vcc
	v_cmp_ge_i32_e32 vcc, v14, v12
	s_or_b64 s[26:27], vcc, s[26:27]
	s_waitcnt vmcnt(0) lgkmcnt(0)
	v_mul_f64 v[26:27], v[10:11], v[26:27]
	flat_store_dwordx2 v[18:19], v[26:27]
	flat_load_dwordx2 v[18:19], v[28:29]
	s_waitcnt vmcnt(0) lgkmcnt(0)
	v_mul_f64 v[18:19], v[10:11], v[18:19]
	flat_store_dwordx2 v[28:29], v[18:19]
	s_andn2_b64 exec, exec, s[26:27]
	s_cbranch_execnz .LBB32_33
.LBB32_34:                              ;   in Loop: Header=BB32_8 Depth=1
	s_or_b64 exec, exec, s[14:15]
                                        ; implicit-def: $vgpr10_vgpr11
.LBB32_35:                              ;   in Loop: Header=BB32_8 Depth=1
	s_andn2_saveexec_b64 s[12:13], s[12:13]
	s_cbranch_execz .LBB32_42
; %bb.36:                               ;   in Loop: Header=BB32_8 Depth=1
	global_load_dword v1, v[32:33], off offset:16
	global_load_dword v22, v[32:33], off offset:32
	v_accvgpr_read_b32 v29, a17
	v_accvgpr_read_b32 v28, a16
	v_div_scale_f64 v[14:15], s[14:15], v[28:29], v[28:29], v[10:11]
	v_rcp_f64_e32 v[16:17], v[14:15]
	v_div_scale_f64 v[18:19], vcc, v[10:11], v[28:29], v[10:11]
	v_fma_f64 v[12:13], -v[14:15], v[16:17], 1.0
	v_fmac_f64_e32 v[16:17], v[16:17], v[12:13]
	v_fma_f64 v[12:13], -v[14:15], v[16:17], 1.0
	v_fmac_f64_e32 v[16:17], v[16:17], v[12:13]
	v_mul_f64 v[26:27], v[18:19], v[16:17]
	v_fma_f64 v[14:15], -v[14:15], v[26:27], v[18:19]
	v_div_fmas_f64 v[14:15], v[14:15], v[16:17], v[26:27]
	v_div_fixup_f64 v[10:11], v[14:15], v[28:29], v[10:11]
	s_waitcnt vmcnt(0)
	ds_read_b32 v1, v1
	ds_read_b32 v12, v22
	s_and_saveexec_b64 s[14:15], s[8:9]
	s_cbranch_execz .LBB32_38
; %bb.37:                               ;   in Loop: Header=BB32_8 Depth=1
	s_waitcnt lgkmcnt(0)
	v_ashrrev_i32_e32 v13, 31, v12
	v_lshlrev_b64 v[14:15], 3, v[12:13]
	v_add_co_u32_e32 v14, vcc, v7, v14
	v_addc_co_u32_e32 v15, vcc, v4, v15, vcc
	flat_load_dwordx2 v[16:17], v[14:15]
	s_waitcnt vmcnt(0) lgkmcnt(0)
	v_mul_f64 v[16:17], v[10:11], v[16:17]
	flat_store_dwordx2 v[14:15], v[16:17]
.LBB32_38:                              ;   in Loop: Header=BB32_8 Depth=1
	s_or_b64 exec, exec, s[14:15]
	v_accvgpr_read_b32 v14, a14
	s_waitcnt lgkmcnt(0)
	v_add_u32_e32 v14, v1, v14
	v_cmp_lt_i32_e32 vcc, v14, v12
	v_accvgpr_read_b32 v15, a15
	s_and_saveexec_b64 s[14:15], vcc
	s_cbranch_execz .LBB32_41
; %bb.39:                               ;   in Loop: Header=BB32_8 Depth=1
	v_ashrrev_i32_e32 v15, 31, v14
	v_lshlrev_b64 v[16:17], 3, v[14:15]
	s_mov_b64 s[26:27], 0
.LBB32_40:                              ;   Parent Loop BB32_8 Depth=1
                                        ; =>  This Inner Loop Header: Depth=2
	v_add_co_u32_e32 v18, vcc, v7, v16
	v_addc_co_u32_e32 v19, vcc, v4, v17, vcc
	flat_load_dwordx2 v[26:27], v[18:19]
	v_add_co_u32_e32 v28, vcc, v5, v16
	v_addc_co_u32_e32 v29, vcc, v6, v17, vcc
	v_add_co_u32_e32 v16, vcc, v16, v36
	v_add_u32_e32 v14, v14, v24
	v_addc_co_u32_e32 v17, vcc, v17, v37, vcc
	v_cmp_ge_i32_e32 vcc, v14, v12
	s_or_b64 s[26:27], vcc, s[26:27]
	s_waitcnt vmcnt(0) lgkmcnt(0)
	v_mul_f64 v[26:27], v[10:11], v[26:27]
	flat_store_dwordx2 v[18:19], v[26:27]
	flat_load_dwordx2 v[18:19], v[28:29]
	s_waitcnt vmcnt(0) lgkmcnt(0)
	v_mul_f64 v[18:19], v[10:11], v[18:19]
	flat_store_dwordx2 v[28:29], v[18:19]
	s_andn2_b64 exec, exec, s[26:27]
	s_cbranch_execnz .LBB32_40
.LBB32_41:                              ;   in Loop: Header=BB32_8 Depth=1
	s_or_b64 exec, exec, s[14:15]
.LBB32_42:                              ;   in Loop: Header=BB32_8 Depth=1
	s_or_b64 exec, exec, s[12:13]
	v_accvgpr_read_b32 v10, a42
	v_accvgpr_read_b32 v1, a38
	s_waitcnt lgkmcnt(0)
	s_barrier
	ds_read_b32 v14, v10
	ds_read_b32 v58, v0
	;; [unrolled: 1-line block ×3, first 2 shown]
	v_accvgpr_read_b32 v1, a9
	v_accvgpr_read_b32 v11, a43
	s_waitcnt lgkmcnt(0)
	v_cmp_ge_i32_e32 vcc, v14, v58
	v_cmp_lt_i32_e64 s[12:13], v26, v1
	s_and_saveexec_b64 s[14:15], vcc
	s_xor_b64 s[26:27], exec, s[14:15]
	s_cbranch_execz .LBB32_135
; %bb.43:                               ;   in Loop: Header=BB32_8 Depth=1
	s_and_saveexec_b64 s[28:29], s[12:13]
	s_cbranch_execz .LBB32_134
; %bb.44:                               ;   in Loop: Header=BB32_8 Depth=1
	s_mov_b64 s[30:31], 0
	s_branch .LBB32_47
.LBB32_45:                              ;   in Loop: Header=BB32_47 Depth=2
	s_or_b64 exec, exec, s[36:37]
	s_waitcnt lgkmcnt(0)
	s_barrier
	ds_read_b32 v58, v0
	v_accvgpr_read_b32 v33, a11
	v_accvgpr_read_b32 v4, a8
	v_accvgpr_read_b32 v32, a10
.LBB32_46:                              ;   in Loop: Header=BB32_47 Depth=2
	s_or_b64 exec, exec, s[34:35]
	v_accvgpr_read_b32 v10, a42
	v_accvgpr_read_b32 v1, a38
	ds_read_b32 v14, v10
	ds_read_b32 v26, v1
	v_accvgpr_read_b32 v1, a9
	v_accvgpr_read_b32 v11, a43
	s_waitcnt lgkmcnt(0)
	v_cmp_gt_i32_e32 vcc, v58, v14
	v_cmp_ge_i32_e64 s[14:15], v26, v1
	s_or_b64 s[14:15], vcc, s[14:15]
	s_and_b64 s[14:15], exec, s[14:15]
	s_or_b64 s[30:31], s[14:15], s[30:31]
	s_andn2_b64 exec, exec, s[30:31]
	s_cbranch_execz .LBB32_133
.LBB32_47:                              ;   Parent Loop BB32_8 Depth=1
                                        ; =>  This Loop Header: Depth=2
                                        ;       Child Loop BB32_84 Depth 3
                                        ;       Child Loop BB32_69 Depth 3
	;; [unrolled: 1-line block ×3, first 2 shown]
                                        ;         Child Loop BB32_124 Depth 4
                                        ; implicit-def: $vgpr1
	s_and_saveexec_b64 s[14:15], s[4:5]
	s_xor_b64 s[14:15], exec, s[14:15]
	s_cbranch_execz .LBB32_49
; %bb.48:                               ;   in Loop: Header=BB32_47 Depth=2
	global_load_dword v1, v[32:33], off offset:4
                                        ; implicit-def: $vgpr58
                                        ; implicit-def: $vgpr14
                                        ; implicit-def: $vgpr26
.LBB32_49:                              ;   in Loop: Header=BB32_47 Depth=2
	s_andn2_saveexec_b64 s[34:35], s[14:15]
	s_cbranch_execz .LBB32_118
; %bb.50:                               ;   in Loop: Header=BB32_47 Depth=2
	v_cmp_ge_i32_e32 vcc, v58, v14
	s_mov_b64 s[40:41], 0
	v_ashrrev_i32_e32 v59, 31, v58
	s_mov_b64 s[14:15], 0
                                        ; implicit-def: $vgpr10_vgpr11
	s_and_saveexec_b64 s[36:37], vcc
	s_xor_b64 vcc, exec, s[36:37]
	s_cbranch_execnz .LBB32_81
; %bb.51:                               ;   in Loop: Header=BB32_47 Depth=2
	s_or_saveexec_b64 s[36:37], vcc
	v_mov_b32_e32 v16, v58
	s_xor_b64 exec, exec, s[36:37]
	s_cbranch_execnz .LBB32_82
.LBB32_52:                              ;   in Loop: Header=BB32_47 Depth=2
	s_or_b64 exec, exec, s[36:37]
                                        ; implicit-def: $vgpr1
	s_and_saveexec_b64 vcc, s[14:15]
	s_cbranch_execnz .LBB32_87
.LBB32_53:                              ;   in Loop: Header=BB32_47 Depth=2
	s_or_b64 exec, exec, vcc
	s_and_saveexec_b64 s[14:15], s[40:41]
	s_cbranch_execz .LBB32_55
.LBB32_54:                              ;   in Loop: Header=BB32_47 Depth=2
	global_load_dword v1, v[32:33], off offset:4
	global_load_dword v12, v[32:33], off offset:16
	buffer_load_dword v10, off, s[0:3], s32 offset:112 ; 4-byte Folded Reload
	buffer_load_dword v11, off, s[0:3], s32 offset:116 ; 4-byte Folded Reload
	s_waitcnt vmcnt(0)
	v_mov_b32_e32 v16, v10
	v_mov_b32_e32 v17, v10
	v_accvgpr_read_b32 v11, a5
	v_mov_b32_e32 v14, v16
	v_accvgpr_read_b32 v10, a4
	buffer_store_dword v14, off, s[0:3], s32 offset:112 ; 4-byte Folded Spill
	s_nop 0
	buffer_store_dword v15, off, s[0:3], s32 offset:116 ; 4-byte Folded Spill
	flat_store_dwordx2 v[42:43], v[16:17]
	v_mov_b32_e32 v16, v9
	ds_write_b32 v1, v9
	ds_write_b32 v12, v58
.LBB32_55:                              ;   in Loop: Header=BB32_47 Depth=2
	s_or_b64 exec, exec, s[14:15]
	v_lshlrev_b64 v[28:29], 3, v[10:11]
	v_add_co_u32_e32 v60, vcc, v7, v28
	v_addc_co_u32_e32 v61, vcc, v4, v29, vcc
	global_load_dword v59, v[32:33], off offset:8
	flat_load_dwordx2 v[54:55], v[60:61]
	v_cmp_ne_u32_e32 vcc, v16, v58
	v_add_u32_e32 v10, 1, v58
	s_waitcnt vmcnt(0) lgkmcnt(0)
	ds_write_b64 v59, v[54:55]
	s_and_saveexec_b64 s[14:15], vcc
	s_xor_b64 s[36:37], exec, s[14:15]
	s_cbranch_execz .LBB32_115
; %bb.56:                               ;   in Loop: Header=BB32_47 Depth=2
	v_cmp_ne_u32_e32 vcc, v16, v10
	s_and_saveexec_b64 s[14:15], vcc
	s_xor_b64 s[38:39], exec, s[14:15]
	s_cbranch_execz .LBB32_91
; %bb.57:                               ;   in Loop: Header=BB32_47 Depth=2
	v_add_co_u32_e32 v10, vcc, v5, v28
	v_addc_co_u32_e32 v11, vcc, v6, v29, vcc
	v_accvgpr_write_b32 a45, v11
	flat_load_dwordx2 v[12:13], v[60:61] offset:8
	v_accvgpr_write_b32 a44, v10
	flat_load_dwordx2 v[10:11], v[10:11]
	v_ashrrev_i32_e32 v17, 31, v16
	v_lshlrev_b64 v[52:53], 3, v[16:17]
	v_add_co_u32_e32 v32, vcc, v7, v52
	v_addc_co_u32_e32 v33, vcc, v4, v53, vcc
	flat_load_dwordx2 v[14:15], v[32:33]
	buffer_load_dword v18, off, s[0:3], s32 offset:112 ; 4-byte Folded Reload
	buffer_load_dword v19, off, s[0:3], s32 offset:116 ; 4-byte Folded Reload
	v_add_u32_e32 v17, 1, v26
	v_accvgpr_read_b32 v4, a38
	ds_write_b32 v4, v17
	v_mov_b32_e32 v30, 0
	v_mov_b32_e32 v31, 0x3ff00000
	s_waitcnt vmcnt(0) lgkmcnt(0)
	v_add_f64 v[12:13], v[12:13], -v[54:55]
	v_add_f64 v[26:27], v[10:11], v[10:11]
	v_div_scale_f64 v[28:29], s[14:15], v[26:27], v[26:27], v[12:13]
	v_rcp_f64_e32 v[38:39], v[28:29]
	v_div_scale_f64 v[44:45], vcc, v[12:13], v[26:27], v[12:13]
	v_cmp_gt_i32_e64 s[14:15], v16, v58
	v_fma_f64 v[46:47], -v[28:29], v[38:39], 1.0
	v_fmac_f64_e32 v[38:39], v[38:39], v[46:47]
	v_fma_f64 v[46:47], -v[28:29], v[38:39], 1.0
	v_fmac_f64_e32 v[38:39], v[38:39], v[46:47]
	v_mul_f64 v[46:47], v[44:45], v[38:39]
	v_fma_f64 v[28:29], -v[28:29], v[46:47], v[44:45]
	v_div_fmas_f64 v[28:29], v[28:29], v[38:39], v[46:47]
	v_div_fixup_f64 v[12:13], v[28:29], v[26:27], v[12:13]
	v_fma_f64 v[26:27], v[12:13], v[12:13], 1.0
	v_cmp_gt_f64_e32 vcc, s[20:21], v[26:27]
	v_mov_b32_e32 v22, v18
	v_mov_b32_e32 v23, v18
	v_cndmask_b32_e64 v18, 0, 1, vcc
	v_lshlrev_b32_e32 v18, 8, v18
	v_ldexp_f64 v[26:27], v[26:27], v18
	v_rsq_f64_e32 v[28:29], v[26:27]
	v_mov_b32_e32 v4, v22
	buffer_store_dword v4, off, s[0:3], s32 offset:112 ; 4-byte Folded Spill
	s_nop 0
	buffer_store_dword v5, off, s[0:3], s32 offset:116 ; 4-byte Folded Spill
	v_mov_b32_e32 v4, 0xffffff80
	v_mul_f64 v[38:39], v[26:27], v[28:29]
	v_mul_f64 v[28:29], v[28:29], 0.5
	v_fma_f64 v[44:45], -v[28:29], v[38:39], 0.5
	v_fmac_f64_e32 v[38:39], v[38:39], v[44:45]
	v_fmac_f64_e32 v[28:29], v[28:29], v[44:45]
	v_fma_f64 v[44:45], -v[38:39], v[38:39], v[26:27]
	v_fmac_f64_e32 v[38:39], v[44:45], v[28:29]
	v_fma_f64 v[44:45], -v[38:39], v[38:39], v[26:27]
	v_cndmask_b32_e32 v17, 0, v4, vcc
	v_fmac_f64_e32 v[38:39], v[44:45], v[28:29]
	v_mov_b32_e32 v4, 0x260
	v_ldexp_f64 v[28:29], v[38:39], v17
	v_cmp_class_f64_e32 vcc, v[26:27], v4
	v_cndmask_b32_e32 v17, v29, v27, vcc
	v_cndmask_b32_e32 v26, v28, v26, vcc
	v_and_b32_e32 v18, 0x7fffffff, v17
	v_or_b32_e32 v17, 0x80000000, v17
	v_cmp_nle_f64_e32 vcc, 0, v[12:13]
	v_cndmask_b32_e32 v27, v18, v17, vcc
	v_add_f64 v[12:13], v[12:13], v[26:27]
	v_div_scale_f64 v[26:27], vcc, v[12:13], v[12:13], v[10:11]
	v_rcp_f64_e32 v[28:29], v[26:27]
	v_add_f64 v[14:15], v[14:15], -v[54:55]
	v_div_scale_f64 v[38:39], vcc, v[10:11], v[12:13], v[10:11]
	v_fma_f64 v[54:55], -v[26:27], v[28:29], 1.0
	v_fmac_f64_e32 v[28:29], v[28:29], v[54:55]
	v_fma_f64 v[54:55], -v[26:27], v[28:29], 1.0
	v_fmac_f64_e32 v[28:29], v[28:29], v[54:55]
	v_mul_f64 v[54:55], v[38:39], v[28:29]
	v_fma_f64 v[26:27], -v[26:27], v[54:55], v[38:39]
	v_div_fmas_f64 v[26:27], v[26:27], v[28:29], v[54:55]
	v_div_fixup_f64 v[10:11], v[26:27], v[12:13], v[10:11]
	v_add_f64 v[28:29], v[14:15], v[10:11]
	v_pk_mov_b32 v[10:11], 0, 0
	ds_write_b64 v59, v[22:23]
	s_and_saveexec_b64 s[40:41], s[14:15]
	s_cbranch_execz .LBB32_90
; %bb.58:                               ;   in Loop: Header=BB32_47 Depth=2
	v_accvgpr_read_b32 v4, a28
	v_add_co_u32_e32 v10, vcc, v4, v52
	v_accvgpr_read_b32 v4, a29
	v_addc_co_u32_e32 v11, vcc, v4, v53, vcc
	flat_load_dwordx2 v[10:11], v[10:11]
	v_pk_mov_b32 v[38:39], 0, 0
	s_waitcnt vmcnt(0) lgkmcnt(0)
	v_cmp_neq_f64_e32 vcc, 0, v[10:11]
	s_and_saveexec_b64 s[14:15], vcc
	s_cbranch_execz .LBB32_66
; %bb.59:                               ;   in Loop: Header=BB32_47 Depth=2
	v_mov_b32_e32 v38, 0
	v_cmp_neq_f64_e32 vcc, 0, v[28:29]
	v_mov_b32_e32 v39, 0x3ff00000
	v_pk_mov_b32 v[30:31], 0, 0
	s_and_saveexec_b64 s[42:43], vcc
	s_cbranch_execz .LBB32_65
; %bb.60:                               ;   in Loop: Header=BB32_47 Depth=2
	v_cmp_ngt_f64_e64 vcc, |v[10:11]|, |v[28:29]|
                                        ; implicit-def: $vgpr38_vgpr39
                                        ; implicit-def: $vgpr30_vgpr31
	s_and_saveexec_b64 s[44:45], vcc
	s_xor_b64 s[44:45], exec, s[44:45]
	s_cbranch_execz .LBB32_62
; %bb.61:                               ;   in Loop: Header=BB32_47 Depth=2
	v_div_scale_f64 v[12:13], vcc, v[28:29], v[28:29], -v[10:11]
	v_rcp_f64_e32 v[14:15], v[12:13]
	v_div_scale_f64 v[26:27], vcc, -v[10:11], v[28:29], -v[10:11]
	v_mov_b32_e32 v4, 0xffffff80
	v_fma_f64 v[30:31], -v[12:13], v[14:15], 1.0
	v_fmac_f64_e32 v[14:15], v[14:15], v[30:31]
	v_fma_f64 v[30:31], -v[12:13], v[14:15], 1.0
	v_fmac_f64_e32 v[14:15], v[14:15], v[30:31]
	v_mul_f64 v[30:31], v[26:27], v[14:15]
	v_fma_f64 v[12:13], -v[12:13], v[30:31], v[26:27]
	v_div_fmas_f64 v[12:13], v[12:13], v[14:15], v[30:31]
	v_div_fixup_f64 v[12:13], v[12:13], v[28:29], -v[10:11]
	v_fma_f64 v[14:15], v[12:13], v[12:13], 1.0
	v_cmp_gt_f64_e32 vcc, s[20:21], v[14:15]
	v_cndmask_b32_e64 v17, 0, 1, vcc
	v_lshlrev_b32_e32 v17, 8, v17
	v_ldexp_f64 v[14:15], v[14:15], v17
	v_rsq_f64_e32 v[26:27], v[14:15]
	v_cndmask_b32_e32 v17, 0, v4, vcc
	v_mov_b32_e32 v4, 0x260
	v_cmp_class_f64_e32 vcc, v[14:15], v4
	v_mul_f64 v[28:29], v[14:15], v[26:27]
	v_mul_f64 v[26:27], v[26:27], 0.5
	v_fma_f64 v[30:31], -v[26:27], v[28:29], 0.5
	v_fmac_f64_e32 v[28:29], v[28:29], v[30:31]
	v_fma_f64 v[38:39], -v[28:29], v[28:29], v[14:15]
	v_fmac_f64_e32 v[26:27], v[26:27], v[30:31]
	v_fmac_f64_e32 v[28:29], v[38:39], v[26:27]
	v_fma_f64 v[30:31], -v[28:29], v[28:29], v[14:15]
	v_fmac_f64_e32 v[28:29], v[30:31], v[26:27]
	v_ldexp_f64 v[26:27], v[28:29], v17
	v_cndmask_b32_e32 v15, v27, v15, vcc
	v_cndmask_b32_e32 v14, v26, v14, vcc
	v_div_scale_f64 v[26:27], vcc, v[14:15], v[14:15], 1.0
	v_rcp_f64_e32 v[28:29], v[26:27]
	v_fma_f64 v[30:31], -v[26:27], v[28:29], 1.0
	v_fmac_f64_e32 v[28:29], v[28:29], v[30:31]
	v_fma_f64 v[30:31], -v[26:27], v[28:29], 1.0
	v_fmac_f64_e32 v[28:29], v[28:29], v[30:31]
	v_div_scale_f64 v[30:31], vcc, 1.0, v[14:15], 1.0
	v_mul_f64 v[38:39], v[30:31], v[28:29]
	v_fma_f64 v[26:27], -v[26:27], v[38:39], v[30:31]
	s_nop 1
	v_div_fmas_f64 v[26:27], v[26:27], v[28:29], v[38:39]
	v_div_fixup_f64 v[30:31], v[26:27], v[14:15], 1.0
	v_mul_f64 v[38:39], v[12:13], v[30:31]
                                        ; implicit-def: $vgpr28_vgpr29
.LBB32_62:                              ;   in Loop: Header=BB32_47 Depth=2
	s_andn2_saveexec_b64 s[44:45], s[44:45]
	s_cbranch_execz .LBB32_64
; %bb.63:                               ;   in Loop: Header=BB32_47 Depth=2
	v_div_scale_f64 v[12:13], vcc, v[10:11], v[10:11], -v[28:29]
	v_rcp_f64_e32 v[14:15], v[12:13]
	v_div_scale_f64 v[26:27], vcc, -v[28:29], v[10:11], -v[28:29]
	v_mov_b32_e32 v4, 0xffffff80
	v_fma_f64 v[30:31], -v[12:13], v[14:15], 1.0
	v_fmac_f64_e32 v[14:15], v[14:15], v[30:31]
	v_fma_f64 v[30:31], -v[12:13], v[14:15], 1.0
	v_fmac_f64_e32 v[14:15], v[14:15], v[30:31]
	v_mul_f64 v[30:31], v[26:27], v[14:15]
	v_fma_f64 v[12:13], -v[12:13], v[30:31], v[26:27]
	v_div_fmas_f64 v[12:13], v[12:13], v[14:15], v[30:31]
	v_div_fixup_f64 v[12:13], v[12:13], v[10:11], -v[28:29]
	v_fma_f64 v[14:15], v[12:13], v[12:13], 1.0
	v_cmp_gt_f64_e32 vcc, s[20:21], v[14:15]
	v_cndmask_b32_e64 v17, 0, 1, vcc
	v_lshlrev_b32_e32 v17, 8, v17
	v_ldexp_f64 v[14:15], v[14:15], v17
	v_rsq_f64_e32 v[26:27], v[14:15]
	v_cndmask_b32_e32 v17, 0, v4, vcc
	v_mov_b32_e32 v4, 0x260
	v_cmp_class_f64_e32 vcc, v[14:15], v4
	v_mul_f64 v[28:29], v[14:15], v[26:27]
	v_mul_f64 v[26:27], v[26:27], 0.5
	v_fma_f64 v[30:31], -v[26:27], v[28:29], 0.5
	v_fmac_f64_e32 v[28:29], v[28:29], v[30:31]
	v_fma_f64 v[38:39], -v[28:29], v[28:29], v[14:15]
	v_fmac_f64_e32 v[26:27], v[26:27], v[30:31]
	v_fmac_f64_e32 v[28:29], v[38:39], v[26:27]
	v_fma_f64 v[30:31], -v[28:29], v[28:29], v[14:15]
	v_fmac_f64_e32 v[28:29], v[30:31], v[26:27]
	v_ldexp_f64 v[26:27], v[28:29], v17
	v_cndmask_b32_e32 v15, v27, v15, vcc
	v_cndmask_b32_e32 v14, v26, v14, vcc
	v_div_scale_f64 v[26:27], vcc, v[14:15], v[14:15], 1.0
	v_rcp_f64_e32 v[28:29], v[26:27]
	v_fma_f64 v[30:31], -v[26:27], v[28:29], 1.0
	v_fmac_f64_e32 v[28:29], v[28:29], v[30:31]
	v_fma_f64 v[30:31], -v[26:27], v[28:29], 1.0
	v_fmac_f64_e32 v[28:29], v[28:29], v[30:31]
	v_div_scale_f64 v[30:31], vcc, 1.0, v[14:15], 1.0
	v_mul_f64 v[38:39], v[30:31], v[28:29]
	v_fma_f64 v[26:27], -v[26:27], v[38:39], v[30:31]
	s_nop 1
	v_div_fmas_f64 v[26:27], v[26:27], v[28:29], v[38:39]
	v_div_fixup_f64 v[38:39], v[26:27], v[14:15], 1.0
	v_mul_f64 v[30:31], v[12:13], v[38:39]
.LBB32_64:                              ;   in Loop: Header=BB32_47 Depth=2
	s_or_b64 exec, exec, s[44:45]
.LBB32_65:                              ;   in Loop: Header=BB32_47 Depth=2
	s_or_b64 exec, exec, s[42:43]
.LBB32_66:                              ;   in Loop: Header=BB32_47 Depth=2
	s_or_b64 exec, exec, s[14:15]
	v_add_co_u32_e32 v12, vcc, -8, v32
	v_addc_co_u32_e32 v13, vcc, -1, v33, vcc
	flat_load_dwordx4 v[26:29], v[12:13]
	v_accvgpr_read_b32 v4, a30
	v_add_co_u32_e32 v52, vcc, v4, v52
	v_accvgpr_read_b32 v4, a31
	v_addc_co_u32_e32 v53, vcc, v4, v53, vcc
	v_accvgpr_read_b32 v18, a32
	v_add_f64 v[14:15], v[30:31], v[30:31]
	v_accvgpr_read_b32 v19, a33
	v_add_co_u32_e32 v54, vcc, v52, v18
	v_add_u32_e32 v12, -1, v16
	v_addc_co_u32_e32 v55, vcc, v53, v19, vcc
	v_cmp_gt_i32_e32 vcc, v12, v58
	s_waitcnt vmcnt(0) lgkmcnt(0)
	v_add_f64 v[26:27], v[26:27], -v[28:29]
	v_mul_f64 v[26:27], v[38:39], v[26:27]
	v_fma_f64 v[14:15], v[10:11], v[14:15], -v[26:27]
	v_mul_f64 v[26:27], v[14:15], -v[38:39]
	v_fma_f64 v[44:45], v[14:15], -v[38:39], v[28:29]
	v_fma_f64 v[28:29], v[30:31], v[14:15], -v[10:11]
	ds_write_b64 v59, v[26:27]
	flat_store_dwordx2 v[32:33], v[44:45]
	flat_store_dwordx2 v[52:53], v[30:31]
	;; [unrolled: 1-line block ×3, first 2 shown]
	s_and_saveexec_b64 s[14:15], vcc
	s_cbranch_execz .LBB32_89
; %bb.67:                               ;   in Loop: Header=BB32_47 Depth=2
	v_ashrrev_i32_e32 v13, 31, v12
	v_lshlrev_b64 v[10:11], 3, v[12:13]
	v_accvgpr_read_b32 v4, a30
	v_add_co_u32_e32 v32, vcc, v4, v10
	v_accvgpr_read_b32 v4, a31
	v_addc_co_u32_e32 v33, vcc, v4, v11, vcc
	v_accvgpr_read_b32 v4, a34
	v_add_co_u32_e32 v52, vcc, v4, v10
	v_accvgpr_read_b32 v4, a35
	v_addc_co_u32_e32 v53, vcc, v4, v11, vcc
	v_accvgpr_read_b32 v4, a28
	v_add_co_u32_e32 v54, vcc, v4, v10
	v_accvgpr_read_b32 v4, a29
	v_xor_b32_e32 v39, 0x80000000, v39
	v_addc_co_u32_e32 v55, vcc, v4, v11, vcc
	s_mov_b32 s50, -1
	s_mov_b64 s[42:43], 0
	s_branch .LBB32_69
.LBB32_68:                              ;   in Loop: Header=BB32_69 Depth=3
	flat_load_dwordx4 v[44:47], v[52:53]
	ds_read_b64 v[14:15], v59
	v_accvgpr_read_b32 v22, a32
	v_mul_f64 v[10:11], v[30:31], v[10:11]
	v_accvgpr_read_b32 v23, a33
	v_add_co_u32_e32 v30, vcc, v32, v22
	v_addc_co_u32_e32 v31, vcc, v33, v23, vcc
	v_add_f64 v[18:19], v[26:27], v[26:27]
	s_add_i32 s50, s50, -1
	v_add_co_u32_e32 v54, vcc, -8, v54
	v_addc_co_u32_e32 v55, vcc, -1, v55, vcc
	v_add_u32_e32 v17, s50, v16
	v_cmp_le_i32_e32 vcc, v17, v58
	s_or_b64 s[42:43], vcc, s[42:43]
	v_xor_b32_e32 v39, 0x80000000, v13
	v_mov_b32_e32 v38, v12
	s_waitcnt vmcnt(0) lgkmcnt(0)
	v_add_f64 v[14:15], v[46:47], -v[14:15]
	v_add_f64 v[28:29], v[44:45], -v[14:15]
	v_mul_f64 v[28:29], v[12:13], v[28:29]
	v_fma_f64 v[18:19], v[10:11], v[18:19], -v[28:29]
	v_mul_f64 v[44:45], v[18:19], -v[12:13]
	v_fma_f64 v[14:15], v[18:19], -v[12:13], v[14:15]
	ds_write_b64 v59, v[44:45]
	flat_store_dwordx2 v[52:53], v[14:15] offset:8
	flat_store_dwordx2 v[32:33], v[26:27]
	flat_store_dwordx2 v[30:31], v[12:13]
	v_add_co_u32_e32 v32, vcc, -8, v32
	v_addc_co_u32_e32 v33, vcc, -1, v33, vcc
	v_add_co_u32_e32 v52, vcc, -8, v52
	v_fma_f64 v[28:29], v[26:27], v[18:19], -v[10:11]
	v_addc_co_u32_e32 v53, vcc, -1, v53, vcc
	v_pk_mov_b32 v[30:31], v[26:27], v[26:27] op_sel:[0,1]
	s_andn2_b64 exec, exec, s[42:43]
	s_cbranch_execz .LBB32_88
.LBB32_69:                              ;   Parent Loop BB32_8 Depth=1
                                        ;     Parent Loop BB32_47 Depth=2
                                        ; =>    This Inner Loop Header: Depth=3
	flat_load_dwordx2 v[10:11], v[54:55]
	v_mov_b32_e32 v26, 0
	v_mov_b32_e32 v27, 0x3ff00000
	v_pk_mov_b32 v[12:13], 0, 0
	s_waitcnt vmcnt(0) lgkmcnt(0)
	v_mul_f64 v[38:39], v[38:39], v[10:11]
	v_cmp_neq_f64_e32 vcc, 0, v[38:39]
	s_and_saveexec_b64 s[44:45], vcc
	s_cbranch_execz .LBB32_79
; %bb.70:                               ;   in Loop: Header=BB32_69 Depth=3
	v_cmp_neq_f64_e32 vcc, 0, v[28:29]
                                        ; implicit-def: $vgpr12_vgpr13
                                        ; implicit-def: $vgpr26_vgpr27
	s_and_saveexec_b64 s[46:47], vcc
	s_xor_b64 s[46:47], exec, s[46:47]
	s_cbranch_execz .LBB32_76
; %bb.71:                               ;   in Loop: Header=BB32_69 Depth=3
	v_cmp_ngt_f64_e64 vcc, |v[38:39]|, |v[28:29]|
                                        ; implicit-def: $vgpr12_vgpr13
                                        ; implicit-def: $vgpr26_vgpr27
	s_and_saveexec_b64 s[48:49], vcc
	s_xor_b64 s[48:49], exec, s[48:49]
	s_cbranch_execz .LBB32_73
; %bb.72:                               ;   in Loop: Header=BB32_69 Depth=3
	v_div_scale_f64 v[12:13], vcc, v[28:29], v[28:29], -v[38:39]
	v_rcp_f64_e32 v[14:15], v[12:13]
	v_div_scale_f64 v[18:19], vcc, -v[38:39], v[28:29], -v[38:39]
	v_mov_b32_e32 v4, 0xffffff80
	v_fma_f64 v[26:27], -v[12:13], v[14:15], 1.0
	v_fmac_f64_e32 v[14:15], v[14:15], v[26:27]
	v_fma_f64 v[26:27], -v[12:13], v[14:15], 1.0
	v_fmac_f64_e32 v[14:15], v[14:15], v[26:27]
	v_mul_f64 v[26:27], v[18:19], v[14:15]
	v_fma_f64 v[12:13], -v[12:13], v[26:27], v[18:19]
	v_div_fmas_f64 v[12:13], v[12:13], v[14:15], v[26:27]
	v_div_fixup_f64 v[12:13], v[12:13], v[28:29], -v[38:39]
	v_fma_f64 v[14:15], v[12:13], v[12:13], 1.0
	v_cmp_gt_f64_e32 vcc, s[20:21], v[14:15]
	v_cndmask_b32_e64 v17, 0, 1, vcc
	v_lshlrev_b32_e32 v17, 8, v17
	v_ldexp_f64 v[14:15], v[14:15], v17
	v_rsq_f64_e32 v[18:19], v[14:15]
	v_cndmask_b32_e32 v17, 0, v4, vcc
	v_mov_b32_e32 v4, 0x260
	v_cmp_class_f64_e32 vcc, v[14:15], v4
	v_mul_f64 v[26:27], v[14:15], v[18:19]
	v_mul_f64 v[18:19], v[18:19], 0.5
	v_fma_f64 v[44:45], -v[18:19], v[26:27], 0.5
	v_fmac_f64_e32 v[26:27], v[26:27], v[44:45]
	v_fma_f64 v[46:47], -v[26:27], v[26:27], v[14:15]
	v_fmac_f64_e32 v[18:19], v[18:19], v[44:45]
	v_fmac_f64_e32 v[26:27], v[46:47], v[18:19]
	v_fma_f64 v[44:45], -v[26:27], v[26:27], v[14:15]
	v_fmac_f64_e32 v[26:27], v[44:45], v[18:19]
	v_ldexp_f64 v[18:19], v[26:27], v17
	v_cndmask_b32_e32 v15, v19, v15, vcc
	v_cndmask_b32_e32 v14, v18, v14, vcc
	v_div_scale_f64 v[18:19], vcc, v[14:15], v[14:15], 1.0
	v_rcp_f64_e32 v[26:27], v[18:19]
	v_fma_f64 v[44:45], -v[18:19], v[26:27], 1.0
	v_fmac_f64_e32 v[26:27], v[26:27], v[44:45]
	v_fma_f64 v[44:45], -v[18:19], v[26:27], 1.0
	v_fmac_f64_e32 v[26:27], v[26:27], v[44:45]
	v_div_scale_f64 v[44:45], vcc, 1.0, v[14:15], 1.0
	v_mul_f64 v[46:47], v[44:45], v[26:27]
	v_fma_f64 v[18:19], -v[18:19], v[46:47], v[44:45]
	s_nop 1
	v_div_fmas_f64 v[18:19], v[18:19], v[26:27], v[46:47]
	v_div_fixup_f64 v[26:27], v[18:19], v[14:15], 1.0
	v_mul_f64 v[12:13], v[12:13], v[26:27]
.LBB32_73:                              ;   in Loop: Header=BB32_69 Depth=3
	s_andn2_saveexec_b64 s[48:49], s[48:49]
	s_cbranch_execz .LBB32_75
; %bb.74:                               ;   in Loop: Header=BB32_69 Depth=3
	v_div_scale_f64 v[12:13], vcc, v[38:39], v[38:39], -v[28:29]
	v_rcp_f64_e32 v[14:15], v[12:13]
	v_div_scale_f64 v[26:27], vcc, -v[28:29], v[38:39], -v[28:29]
	v_mov_b32_e32 v4, 0xffffff80
	v_fma_f64 v[44:45], -v[12:13], v[14:15], 1.0
	v_fmac_f64_e32 v[14:15], v[14:15], v[44:45]
	v_fma_f64 v[44:45], -v[12:13], v[14:15], 1.0
	v_fmac_f64_e32 v[14:15], v[14:15], v[44:45]
	v_mul_f64 v[44:45], v[26:27], v[14:15]
	v_fma_f64 v[12:13], -v[12:13], v[44:45], v[26:27]
	v_div_fmas_f64 v[12:13], v[12:13], v[14:15], v[44:45]
	v_div_fixup_f64 v[14:15], v[12:13], v[38:39], -v[28:29]
	v_fma_f64 v[12:13], v[14:15], v[14:15], 1.0
	v_cmp_gt_f64_e32 vcc, s[20:21], v[12:13]
	v_cndmask_b32_e64 v17, 0, 1, vcc
	v_lshlrev_b32_e32 v17, 8, v17
	v_ldexp_f64 v[12:13], v[12:13], v17
	v_rsq_f64_e32 v[26:27], v[12:13]
	v_cndmask_b32_e32 v17, 0, v4, vcc
	v_mov_b32_e32 v4, 0x260
	v_cmp_class_f64_e32 vcc, v[12:13], v4
	v_mul_f64 v[44:45], v[12:13], v[26:27]
	v_mul_f64 v[26:27], v[26:27], 0.5
	v_fma_f64 v[46:47], -v[26:27], v[44:45], 0.5
	v_fmac_f64_e32 v[44:45], v[44:45], v[46:47]
	v_fma_f64 v[18:19], -v[44:45], v[44:45], v[12:13]
	v_fmac_f64_e32 v[26:27], v[26:27], v[46:47]
	v_fmac_f64_e32 v[44:45], v[18:19], v[26:27]
	v_fma_f64 v[18:19], -v[44:45], v[44:45], v[12:13]
	v_fmac_f64_e32 v[44:45], v[18:19], v[26:27]
	v_ldexp_f64 v[18:19], v[44:45], v17
	v_cndmask_b32_e32 v13, v19, v13, vcc
	v_cndmask_b32_e32 v12, v18, v12, vcc
	v_div_scale_f64 v[18:19], vcc, v[12:13], v[12:13], 1.0
	v_rcp_f64_e32 v[26:27], v[18:19]
	v_fma_f64 v[44:45], -v[18:19], v[26:27], 1.0
	v_fmac_f64_e32 v[26:27], v[26:27], v[44:45]
	v_fma_f64 v[44:45], -v[18:19], v[26:27], 1.0
	v_fmac_f64_e32 v[26:27], v[26:27], v[44:45]
	v_div_scale_f64 v[44:45], vcc, 1.0, v[12:13], 1.0
	v_mul_f64 v[46:47], v[44:45], v[26:27]
	v_fma_f64 v[18:19], -v[18:19], v[46:47], v[44:45]
	s_nop 1
	v_div_fmas_f64 v[18:19], v[18:19], v[26:27], v[46:47]
	v_div_fixup_f64 v[12:13], v[18:19], v[12:13], 1.0
	v_mul_f64 v[26:27], v[14:15], v[12:13]
.LBB32_75:                              ;   in Loop: Header=BB32_69 Depth=3
	s_or_b64 exec, exec, s[48:49]
	v_mul_f64 v[14:15], v[38:39], v[12:13]
	v_fma_f64 v[28:29], v[28:29], v[26:27], -v[14:15]
                                        ; implicit-def: $vgpr38_vgpr39
.LBB32_76:                              ;   in Loop: Header=BB32_69 Depth=3
	s_andn2_saveexec_b64 vcc, s[46:47]
; %bb.77:                               ;   in Loop: Header=BB32_69 Depth=3
	v_xor_b32_e32 v39, 0x80000000, v39
	v_mov_b32_e32 v12, 0
	v_mov_b32_e32 v13, 0x3ff00000
	v_pk_mov_b32 v[26:27], 0, 0
	v_pk_mov_b32 v[28:29], v[38:39], v[38:39] op_sel:[0,1]
; %bb.78:                               ;   in Loop: Header=BB32_69 Depth=3
	s_or_b64 exec, exec, vcc
.LBB32_79:                              ;   in Loop: Header=BB32_69 Depth=3
	s_or_b64 exec, exec, s[44:45]
	s_cmp_eq_u32 s50, 0
	s_cbranch_scc1 .LBB32_68
; %bb.80:                               ;   in Loop: Header=BB32_69 Depth=3
	flat_store_dwordx2 v[54:55], v[28:29] offset:8
	s_branch .LBB32_68
.LBB32_81:                              ;   in Loop: Header=BB32_47 Depth=2
	s_mov_b64 s[14:15], exec
	v_pk_mov_b32 v[10:11], v[58:59], v[58:59] op_sel:[0,1]
                                        ; implicit-def: $vgpr14
	s_or_saveexec_b64 s[36:37], vcc
	v_mov_b32_e32 v16, v58
	s_xor_b64 exec, exec, s[36:37]
	s_cbranch_execz .LBB32_52
.LBB32_82:                              ;   in Loop: Header=BB32_47 Depth=2
	v_lshlrev_b64 v[12:13], 3, v[58:59]
	v_add_co_u32_e32 v10, vcc, v7, v12
	v_addc_co_u32_e32 v11, vcc, v4, v13, vcc
	v_accvgpr_write_b32 a4, v58
	v_add_co_u32_e32 v12, vcc, v5, v12
	v_accvgpr_write_b32 a5, v59
	v_addc_co_u32_e32 v13, vcc, v6, v13, vcc
	s_waitcnt vmcnt(0)
	v_mov_b32_e32 v1, v58
                                        ; implicit-def: $sgpr38_sgpr39
                                        ; implicit-def: $sgpr44_sgpr45
                                        ; implicit-def: $sgpr42_sgpr43
	s_branch .LBB32_84
.LBB32_83:                              ;   in Loop: Header=BB32_84 Depth=3
	s_or_b64 exec, exec, s[46:47]
	s_xor_b64 vcc, s[42:43], -1
	s_and_b64 s[46:47], exec, s[44:45]
	s_or_b64 s[40:41], s[46:47], s[40:41]
	s_andn2_b64 s[38:39], s[38:39], exec
	s_and_b64 vcc, vcc, exec
	s_or_b64 s[38:39], s[38:39], vcc
	s_andn2_b64 exec, exec, s[40:41]
	s_cbranch_execz .LBB32_86
.LBB32_84:                              ;   Parent Loop BB32_8 Depth=1
                                        ;     Parent Loop BB32_47 Depth=2
                                        ; =>    This Inner Loop Header: Depth=3
	v_pk_mov_b32 v[42:43], v[12:13], v[12:13] op_sel:[0,1]
	flat_load_dwordx4 v[16:19], v[10:11]
	s_nop 0
	flat_load_dwordx2 v[12:13], v[12:13]
	v_mov_b32_e32 v9, v1
	s_or_b64 s[42:43], s[42:43], exec
	s_or_b64 s[44:45], s[44:45], exec
                                        ; implicit-def: $vgpr1
	s_waitcnt vmcnt(0) lgkmcnt(0)
	v_mul_f64 v[16:17], v[16:17], v[18:19]
	v_mul_f64 v[12:13], v[12:13], v[12:13]
	v_mul_f64 v[16:17], v[34:35], |v[16:17]|
	v_cmp_nle_f64_e64 vcc, |v[12:13]|, v[16:17]
                                        ; implicit-def: $vgpr12_vgpr13
	s_and_saveexec_b64 s[46:47], vcc
	s_cbranch_execz .LBB32_83
; %bb.85:                               ;   in Loop: Header=BB32_84 Depth=3
	v_add_co_u32_e32 v10, vcc, 8, v10
	v_addc_co_u32_e32 v11, vcc, 0, v11, vcc
	v_add_co_u32_e32 v12, vcc, 8, v42
	v_add_u32_e32 v1, 1, v9
	v_addc_co_u32_e32 v13, vcc, 0, v43, vcc
	v_cmp_ge_i32_e32 vcc, v1, v14
	s_andn2_b64 s[44:45], s[44:45], exec
	s_and_b64 vcc, vcc, exec
	s_andn2_b64 s[42:43], s[42:43], exec
	s_or_b64 s[44:45], s[44:45], vcc
	s_branch .LBB32_83
.LBB32_86:                              ;   in Loop: Header=BB32_47 Depth=2
	s_or_b64 exec, exec, s[40:41]
	s_andn2_b64 s[14:15], s[14:15], exec
	s_and_b64 vcc, s[38:39], exec
	v_accvgpr_read_b32 v11, a5
	s_mov_b64 s[40:41], exec
	s_or_b64 s[14:15], s[14:15], vcc
	v_mov_b32_e32 v16, v14
	v_accvgpr_read_b32 v10, a4
	s_or_b64 exec, exec, s[36:37]
                                        ; implicit-def: $vgpr1
	s_and_saveexec_b64 vcc, s[14:15]
	s_cbranch_execz .LBB32_53
.LBB32_87:                              ;   in Loop: Header=BB32_47 Depth=2
	global_load_dword v1, v[32:33], off offset:4
	global_load_dword v12, v[32:33], off offset:16
	s_andn2_b64 s[40:41], s[40:41], exec
	s_waitcnt vmcnt(0)
	ds_write_b32 v1, v16
	ds_write_b32 v12, v58
	s_or_b64 exec, exec, vcc
	s_and_saveexec_b64 s[14:15], s[40:41]
	s_cbranch_execnz .LBB32_54
	s_branch .LBB32_55
.LBB32_88:                              ;   in Loop: Header=BB32_47 Depth=2
	s_or_b64 exec, exec, s[42:43]
.LBB32_89:                              ;   in Loop: Header=BB32_47 Depth=2
	s_or_b64 exec, exec, s[14:15]
	ds_read_b64 v[10:11], v59
.LBB32_90:                              ;   in Loop: Header=BB32_47 Depth=2
	s_or_b64 exec, exec, s[40:41]
	flat_load_dwordx2 v[12:13], v[60:61]
	v_accvgpr_read_b32 v33, a11
                                        ; implicit-def: $vgpr58
                                        ; implicit-def: $vgpr54_vgpr55
	v_accvgpr_read_b32 v4, a8
	v_accvgpr_read_b32 v32, a10
	s_waitcnt vmcnt(0) lgkmcnt(0)
	v_add_f64 v[10:11], v[12:13], -v[10:11]
	flat_store_dwordx2 v[60:61], v[10:11]
	v_accvgpr_read_b32 v10, a44
	v_accvgpr_read_b32 v11, a45
	flat_store_dwordx2 v[10:11], v[28:29]
                                        ; implicit-def: $vgpr28_vgpr29
                                        ; implicit-def: $vgpr60_vgpr61
.LBB32_91:                              ;   in Loop: Header=BB32_47 Depth=2
	s_andn2_saveexec_b64 s[38:39], s[38:39]
	s_cbranch_execz .LBB32_126
; %bb.92:                               ;   in Loop: Header=BB32_47 Depth=2
	v_add_co_u32_e32 v26, vcc, v5, v28
	v_addc_co_u32_e32 v27, vcc, v6, v29, vcc
	flat_load_dwordx2 v[16:17], v[60:61] offset:8
	flat_load_dwordx2 v[10:11], v[26:27]
                                        ; implicit-def: $vgpr12_vgpr13
	s_waitcnt vmcnt(0) lgkmcnt(0)
	v_add_f64 v[32:33], v[54:55], -v[16:17]
	v_add_f64 v[52:53], v[10:11], v[10:11]
	v_cmp_ngt_f64_e64 s[14:15], |v[32:33]|, |v[52:53]|
	s_and_saveexec_b64 vcc, s[14:15]
	s_xor_b64 s[14:15], exec, vcc
	s_cbranch_execz .LBB32_98
; %bb.93:                               ;   in Loop: Header=BB32_47 Depth=2
	v_cmp_nlt_f64_e64 vcc, |v[32:33]|, |v[52:53]|
                                        ; implicit-def: $vgpr12_vgpr13
	s_and_saveexec_b64 s[40:41], vcc
	s_xor_b64 vcc, exec, s[40:41]
; %bb.94:                               ;   in Loop: Header=BB32_47 Depth=2
	v_mul_f64 v[12:13], |v[52:53]|, s[22:23]
; %bb.95:                               ;   in Loop: Header=BB32_47 Depth=2
	s_andn2_saveexec_b64 s[40:41], vcc
	s_cbranch_execz .LBB32_97
; %bb.96:                               ;   in Loop: Header=BB32_47 Depth=2
	v_and_b32_e32 v13, 0x7fffffff, v33
	v_mov_b32_e32 v12, v32
	v_and_b32_e32 v15, 0x7fffffff, v53
	v_mov_b32_e32 v14, v52
	v_div_scale_f64 v[18:19], vcc, v[14:15], v[14:15], v[12:13]
	v_rcp_f64_e32 v[30:31], v[18:19]
	v_div_scale_f64 v[12:13], vcc, v[12:13], v[14:15], v[12:13]
	v_mov_b32_e32 v4, 0xffffff80
	v_fma_f64 v[38:39], -v[18:19], v[30:31], 1.0
	v_fmac_f64_e32 v[30:31], v[30:31], v[38:39]
	v_fma_f64 v[38:39], -v[18:19], v[30:31], 1.0
	v_fmac_f64_e32 v[30:31], v[30:31], v[38:39]
	v_mul_f64 v[14:15], v[12:13], v[30:31]
	v_fma_f64 v[12:13], -v[18:19], v[14:15], v[12:13]
	v_div_fmas_f64 v[12:13], v[12:13], v[30:31], v[14:15]
	v_div_fixup_f64 v[12:13], v[12:13], |v[52:53]|, |v[32:33]|
	v_fma_f64 v[12:13], v[12:13], v[12:13], 1.0
	v_cmp_gt_f64_e32 vcc, s[20:21], v[12:13]
	v_cndmask_b32_e64 v14, 0, 1, vcc
	v_lshlrev_b32_e32 v14, 8, v14
	v_ldexp_f64 v[12:13], v[12:13], v14
	v_rsq_f64_e32 v[14:15], v[12:13]
	v_mul_f64 v[18:19], v[12:13], v[14:15]
	v_mul_f64 v[14:15], v[14:15], 0.5
	v_fma_f64 v[30:31], -v[14:15], v[18:19], 0.5
	v_fmac_f64_e32 v[18:19], v[18:19], v[30:31]
	v_fma_f64 v[38:39], -v[18:19], v[18:19], v[12:13]
	v_fmac_f64_e32 v[14:15], v[14:15], v[30:31]
	v_fmac_f64_e32 v[18:19], v[38:39], v[14:15]
	v_fma_f64 v[30:31], -v[18:19], v[18:19], v[12:13]
	v_fmac_f64_e32 v[18:19], v[30:31], v[14:15]
	v_cndmask_b32_e32 v14, 0, v4, vcc
	v_mov_b32_e32 v4, 0x260
	v_ldexp_f64 v[14:15], v[18:19], v14
	v_cmp_class_f64_e32 vcc, v[12:13], v4
	v_cndmask_b32_e32 v13, v15, v13, vcc
	v_cndmask_b32_e32 v12, v14, v12, vcc
	v_mul_f64 v[12:13], |v[52:53]|, v[12:13]
.LBB32_97:                              ;   in Loop: Header=BB32_47 Depth=2
	s_or_b64 exec, exec, s[40:41]
.LBB32_98:                              ;   in Loop: Header=BB32_47 Depth=2
	s_andn2_saveexec_b64 s[14:15], s[14:15]
	s_cbranch_execz .LBB32_100
; %bb.99:                               ;   in Loop: Header=BB32_47 Depth=2
	v_and_b32_e32 v13, 0x7fffffff, v53
	v_mov_b32_e32 v12, v52
	v_and_b32_e32 v15, 0x7fffffff, v33
	v_mov_b32_e32 v14, v32
	v_div_scale_f64 v[18:19], vcc, v[14:15], v[14:15], v[12:13]
	v_rcp_f64_e32 v[30:31], v[18:19]
	v_div_scale_f64 v[12:13], vcc, v[12:13], v[14:15], v[12:13]
	v_mov_b32_e32 v4, 0xffffff80
	v_fma_f64 v[38:39], -v[18:19], v[30:31], 1.0
	v_fmac_f64_e32 v[30:31], v[30:31], v[38:39]
	v_fma_f64 v[38:39], -v[18:19], v[30:31], 1.0
	v_fmac_f64_e32 v[30:31], v[30:31], v[38:39]
	v_mul_f64 v[14:15], v[12:13], v[30:31]
	v_fma_f64 v[12:13], -v[18:19], v[14:15], v[12:13]
	v_div_fmas_f64 v[12:13], v[12:13], v[30:31], v[14:15]
	v_div_fixup_f64 v[12:13], v[12:13], |v[32:33]|, |v[52:53]|
	v_fma_f64 v[12:13], v[12:13], v[12:13], 1.0
	v_cmp_gt_f64_e32 vcc, s[20:21], v[12:13]
	v_cndmask_b32_e64 v14, 0, 1, vcc
	v_lshlrev_b32_e32 v14, 8, v14
	v_ldexp_f64 v[12:13], v[12:13], v14
	v_rsq_f64_e32 v[14:15], v[12:13]
	v_mul_f64 v[18:19], v[12:13], v[14:15]
	v_mul_f64 v[14:15], v[14:15], 0.5
	v_fma_f64 v[30:31], -v[14:15], v[18:19], 0.5
	v_fmac_f64_e32 v[18:19], v[18:19], v[30:31]
	v_fma_f64 v[38:39], -v[18:19], v[18:19], v[12:13]
	v_fmac_f64_e32 v[14:15], v[14:15], v[30:31]
	v_fmac_f64_e32 v[18:19], v[38:39], v[14:15]
	v_fma_f64 v[30:31], -v[18:19], v[18:19], v[12:13]
	v_fmac_f64_e32 v[18:19], v[30:31], v[14:15]
	v_cndmask_b32_e32 v14, 0, v4, vcc
	v_mov_b32_e32 v4, 0x260
	v_ldexp_f64 v[14:15], v[18:19], v14
	v_cmp_class_f64_e32 vcc, v[12:13], v4
	v_cndmask_b32_e32 v13, v15, v13, vcc
	v_cndmask_b32_e32 v12, v14, v12, vcc
	v_mul_f64 v[12:13], |v[32:33]|, v[12:13]
.LBB32_100:                             ;   in Loop: Header=BB32_47 Depth=2
	s_or_b64 exec, exec, s[14:15]
	v_add_f64 v[14:15], v[54:55], v[16:17]
	v_cmp_gt_f64_e64 vcc, |v[54:55]|, |v[16:17]|
	v_cndmask_b32_e32 v31, v55, v17, vcc
	v_cndmask_b32_e32 v30, v54, v16, vcc
	;; [unrolled: 1-line block ×4, first 2 shown]
	v_cmp_ngt_f64_e32 vcc, 0, v[14:15]
                                        ; implicit-def: $vgpr54
                                        ; implicit-def: $vgpr18_vgpr19
	s_and_saveexec_b64 s[14:15], vcc
	s_xor_b64 s[14:15], exec, s[14:15]
	s_cbranch_execz .LBB32_106
; %bb.101:                              ;   in Loop: Header=BB32_47 Depth=2
	v_cmp_nlt_f64_e32 vcc, 0, v[14:15]
                                        ; implicit-def: $sgpr42
                                        ; implicit-def: $vgpr18_vgpr19
	s_and_saveexec_b64 s[40:41], vcc
	s_xor_b64 vcc, exec, s[40:41]
; %bb.102:                              ;   in Loop: Header=BB32_47 Depth=2
	v_mul_f64 v[16:17], v[12:13], 0.5
	v_mul_f64 v[18:19], v[12:13], -0.5
	s_mov_b32 s42, 1
                                        ; implicit-def: $vgpr14_vgpr15
                                        ; implicit-def: $vgpr38_vgpr39
                                        ; implicit-def: $vgpr10_vgpr11
                                        ; implicit-def: $vgpr30_vgpr31
; %bb.103:                              ;   in Loop: Header=BB32_47 Depth=2
	s_or_saveexec_b64 s[40:41], vcc
	v_mov_b32_e32 v54, s42
	s_xor_b64 exec, exec, s[40:41]
	s_cbranch_execz .LBB32_105
; %bb.104:                              ;   in Loop: Header=BB32_47 Depth=2
	v_add_f64 v[14:15], v[14:15], v[12:13]
	v_mul_f64 v[16:17], v[14:15], 0.5
	v_div_scale_f64 v[14:15], vcc, v[16:17], v[16:17], v[38:39]
	v_rcp_f64_e32 v[18:19], v[14:15]
	v_div_scale_f64 v[54:55], vcc, v[38:39], v[16:17], v[38:39]
	v_fma_f64 v[44:45], -v[14:15], v[18:19], 1.0
	v_fmac_f64_e32 v[18:19], v[18:19], v[44:45]
	v_fma_f64 v[44:45], -v[14:15], v[18:19], 1.0
	v_fmac_f64_e32 v[18:19], v[18:19], v[44:45]
	v_mul_f64 v[44:45], v[54:55], v[18:19]
	v_fma_f64 v[14:15], -v[14:15], v[44:45], v[54:55]
	v_div_scale_f64 v[54:55], s[42:43], v[16:17], v[16:17], v[10:11]
	v_rcp_f64_e32 v[46:47], v[54:55]
	v_div_fmas_f64 v[14:15], v[14:15], v[18:19], v[44:45]
	v_div_fixup_f64 v[14:15], v[14:15], v[16:17], v[38:39]
	v_fma_f64 v[18:19], -v[54:55], v[46:47], 1.0
	v_fmac_f64_e32 v[46:47], v[46:47], v[18:19]
	v_fma_f64 v[18:19], -v[54:55], v[46:47], 1.0
	v_fmac_f64_e32 v[46:47], v[46:47], v[18:19]
	v_div_scale_f64 v[18:19], vcc, v[10:11], v[16:17], v[10:11]
	v_mul_f64 v[38:39], v[18:19], v[46:47]
	v_fma_f64 v[18:19], -v[54:55], v[38:39], v[18:19]
	v_mov_b32_e32 v54, 1
	s_nop 0
	v_div_fmas_f64 v[18:19], v[18:19], v[46:47], v[38:39]
	v_div_fixup_f64 v[18:19], v[18:19], v[16:17], v[10:11]
	v_mul_f64 v[10:11], v[10:11], v[18:19]
	v_fma_f64 v[18:19], v[30:31], v[14:15], -v[10:11]
.LBB32_105:                             ;   in Loop: Header=BB32_47 Depth=2
	s_or_b64 exec, exec, s[40:41]
                                        ; implicit-def: $vgpr14_vgpr15
                                        ; implicit-def: $vgpr38_vgpr39
                                        ; implicit-def: $vgpr10_vgpr11
                                        ; implicit-def: $vgpr30_vgpr31
.LBB32_106:                             ;   in Loop: Header=BB32_47 Depth=2
	s_andn2_saveexec_b64 s[14:15], s[14:15]
	s_cbranch_execz .LBB32_108
; %bb.107:                              ;   in Loop: Header=BB32_47 Depth=2
	v_add_f64 v[14:15], v[14:15], -v[12:13]
	v_mul_f64 v[16:17], v[14:15], 0.5
	v_div_scale_f64 v[14:15], vcc, v[16:17], v[16:17], v[38:39]
	v_rcp_f64_e32 v[18:19], v[14:15]
	v_div_scale_f64 v[54:55], vcc, v[38:39], v[16:17], v[38:39]
	v_fma_f64 v[44:45], -v[14:15], v[18:19], 1.0
	v_fmac_f64_e32 v[18:19], v[18:19], v[44:45]
	v_fma_f64 v[44:45], -v[14:15], v[18:19], 1.0
	v_fmac_f64_e32 v[18:19], v[18:19], v[44:45]
	v_mul_f64 v[44:45], v[54:55], v[18:19]
	v_fma_f64 v[14:15], -v[14:15], v[44:45], v[54:55]
	v_div_scale_f64 v[54:55], s[40:41], v[16:17], v[16:17], v[10:11]
	v_rcp_f64_e32 v[46:47], v[54:55]
	v_div_fmas_f64 v[14:15], v[14:15], v[18:19], v[44:45]
	v_div_fixup_f64 v[14:15], v[14:15], v[16:17], v[38:39]
	v_fma_f64 v[18:19], -v[54:55], v[46:47], 1.0
	v_fmac_f64_e32 v[46:47], v[46:47], v[18:19]
	v_fma_f64 v[18:19], -v[54:55], v[46:47], 1.0
	v_fmac_f64_e32 v[46:47], v[46:47], v[18:19]
	v_div_scale_f64 v[18:19], vcc, v[10:11], v[16:17], v[10:11]
	v_mul_f64 v[38:39], v[18:19], v[46:47]
	v_fma_f64 v[18:19], -v[54:55], v[38:39], v[18:19]
	v_mov_b32_e32 v54, -1
	s_nop 0
	v_div_fmas_f64 v[18:19], v[18:19], v[46:47], v[38:39]
	v_div_fixup_f64 v[18:19], v[18:19], v[16:17], v[10:11]
	v_mul_f64 v[10:11], v[10:11], v[18:19]
	v_fma_f64 v[18:19], v[30:31], v[14:15], -v[10:11]
.LBB32_108:                             ;   in Loop: Header=BB32_47 Depth=2
	s_or_b64 exec, exec, s[14:15]
	v_xor_b32_e32 v10, 0x80000000, v13
	v_cmp_nle_f64_e64 s[14:15], 0, v[32:33]
	v_cndmask_b32_e64 v11, v13, v10, s[14:15]
	v_cndmask_b32_e64 v10, v12, v12, s[14:15]
	v_add_f64 v[10:11], v[32:33], v[10:11]
	v_cmp_ngt_f64_e64 vcc, |v[10:11]|, |v[52:53]|
                                        ; implicit-def: $vgpr12_vgpr13
                                        ; implicit-def: $vgpr14_vgpr15
	s_and_saveexec_b64 s[40:41], vcc
	s_xor_b64 s[40:41], exec, s[40:41]
	s_cbranch_execz .LBB32_112
; %bb.109:                              ;   in Loop: Header=BB32_47 Depth=2
	v_mov_b32_e32 v12, 0
	v_cmp_neq_f64_e32 vcc, 0, v[52:53]
	v_mov_b32_e32 v13, 0x3ff00000
	v_pk_mov_b32 v[14:15], 0, 0
	s_and_saveexec_b64 s[42:43], vcc
	s_cbranch_execz .LBB32_111
; %bb.110:                              ;   in Loop: Header=BB32_47 Depth=2
	v_div_scale_f64 v[12:13], vcc, v[52:53], v[52:53], -v[10:11]
	v_rcp_f64_e32 v[14:15], v[12:13]
	v_div_scale_f64 v[30:31], vcc, -v[10:11], v[52:53], -v[10:11]
	v_mov_b32_e32 v4, 0xffffff80
	v_fma_f64 v[32:33], -v[12:13], v[14:15], 1.0
	v_fmac_f64_e32 v[14:15], v[14:15], v[32:33]
	v_fma_f64 v[32:33], -v[12:13], v[14:15], 1.0
	v_fmac_f64_e32 v[14:15], v[14:15], v[32:33]
	v_mul_f64 v[32:33], v[30:31], v[14:15]
	v_fma_f64 v[12:13], -v[12:13], v[32:33], v[30:31]
	v_div_fmas_f64 v[12:13], v[12:13], v[14:15], v[32:33]
	v_div_fixup_f64 v[10:11], v[12:13], v[52:53], -v[10:11]
	v_fma_f64 v[12:13], v[10:11], v[10:11], 1.0
	v_cmp_gt_f64_e32 vcc, s[20:21], v[12:13]
	v_cndmask_b32_e64 v14, 0, 1, vcc
	v_lshlrev_b32_e32 v14, 8, v14
	v_ldexp_f64 v[12:13], v[12:13], v14
	v_rsq_f64_e32 v[14:15], v[12:13]
	v_mul_f64 v[30:31], v[12:13], v[14:15]
	v_mul_f64 v[14:15], v[14:15], 0.5
	v_fma_f64 v[32:33], -v[14:15], v[30:31], 0.5
	v_fmac_f64_e32 v[30:31], v[30:31], v[32:33]
	v_fma_f64 v[38:39], -v[30:31], v[30:31], v[12:13]
	v_fmac_f64_e32 v[14:15], v[14:15], v[32:33]
	v_fmac_f64_e32 v[30:31], v[38:39], v[14:15]
	v_fma_f64 v[32:33], -v[30:31], v[30:31], v[12:13]
	v_fmac_f64_e32 v[30:31], v[32:33], v[14:15]
	v_cndmask_b32_e32 v14, 0, v4, vcc
	v_mov_b32_e32 v4, 0x260
	v_ldexp_f64 v[14:15], v[30:31], v14
	v_cmp_class_f64_e32 vcc, v[12:13], v4
	v_cndmask_b32_e32 v13, v15, v13, vcc
	v_cndmask_b32_e32 v12, v14, v12, vcc
	v_div_scale_f64 v[14:15], vcc, v[12:13], v[12:13], 1.0
	v_rcp_f64_e32 v[30:31], v[14:15]
	v_fma_f64 v[32:33], -v[14:15], v[30:31], 1.0
	v_fmac_f64_e32 v[30:31], v[30:31], v[32:33]
	v_fma_f64 v[32:33], -v[14:15], v[30:31], 1.0
	v_fmac_f64_e32 v[30:31], v[30:31], v[32:33]
	v_div_scale_f64 v[32:33], vcc, 1.0, v[12:13], 1.0
	v_mul_f64 v[38:39], v[32:33], v[30:31]
	v_fma_f64 v[14:15], -v[14:15], v[38:39], v[32:33]
	s_nop 1
	v_div_fmas_f64 v[14:15], v[14:15], v[30:31], v[38:39]
	v_div_fixup_f64 v[12:13], v[14:15], v[12:13], 1.0
	v_mul_f64 v[14:15], v[10:11], v[12:13]
.LBB32_111:                             ;   in Loop: Header=BB32_47 Depth=2
	s_or_b64 exec, exec, s[42:43]
                                        ; implicit-def: $vgpr10_vgpr11
                                        ; implicit-def: $vgpr52_vgpr53
.LBB32_112:                             ;   in Loop: Header=BB32_47 Depth=2
	s_andn2_saveexec_b64 s[40:41], s[40:41]
	s_cbranch_execz .LBB32_114
; %bb.113:                              ;   in Loop: Header=BB32_47 Depth=2
	v_div_scale_f64 v[12:13], vcc, v[10:11], v[10:11], -v[52:53]
	v_rcp_f64_e32 v[14:15], v[12:13]
	v_div_scale_f64 v[30:31], vcc, -v[52:53], v[10:11], -v[52:53]
	v_mov_b32_e32 v4, 0xffffff80
	v_fma_f64 v[32:33], -v[12:13], v[14:15], 1.0
	v_fmac_f64_e32 v[14:15], v[14:15], v[32:33]
	v_fma_f64 v[32:33], -v[12:13], v[14:15], 1.0
	v_fmac_f64_e32 v[14:15], v[14:15], v[32:33]
	v_mul_f64 v[32:33], v[30:31], v[14:15]
	v_fma_f64 v[12:13], -v[12:13], v[32:33], v[30:31]
	v_div_fmas_f64 v[12:13], v[12:13], v[14:15], v[32:33]
	v_div_fixup_f64 v[10:11], v[12:13], v[10:11], -v[52:53]
	v_fma_f64 v[12:13], v[10:11], v[10:11], 1.0
	v_cmp_gt_f64_e32 vcc, s[20:21], v[12:13]
	v_cndmask_b32_e64 v14, 0, 1, vcc
	v_lshlrev_b32_e32 v14, 8, v14
	v_ldexp_f64 v[12:13], v[12:13], v14
	v_rsq_f64_e32 v[14:15], v[12:13]
	v_mul_f64 v[30:31], v[12:13], v[14:15]
	v_mul_f64 v[14:15], v[14:15], 0.5
	v_fma_f64 v[32:33], -v[14:15], v[30:31], 0.5
	v_fmac_f64_e32 v[30:31], v[30:31], v[32:33]
	v_fma_f64 v[38:39], -v[30:31], v[30:31], v[12:13]
	v_fmac_f64_e32 v[14:15], v[14:15], v[32:33]
	v_fmac_f64_e32 v[30:31], v[38:39], v[14:15]
	v_fma_f64 v[32:33], -v[30:31], v[30:31], v[12:13]
	v_fmac_f64_e32 v[30:31], v[32:33], v[14:15]
	v_cndmask_b32_e32 v14, 0, v4, vcc
	v_mov_b32_e32 v4, 0x260
	v_ldexp_f64 v[14:15], v[30:31], v14
	v_cmp_class_f64_e32 vcc, v[12:13], v4
	v_cndmask_b32_e32 v13, v15, v13, vcc
	v_cndmask_b32_e32 v12, v14, v12, vcc
	v_div_scale_f64 v[14:15], vcc, v[12:13], v[12:13], 1.0
	v_rcp_f64_e32 v[30:31], v[14:15]
	v_fma_f64 v[32:33], -v[14:15], v[30:31], 1.0
	v_fmac_f64_e32 v[30:31], v[30:31], v[32:33]
	v_fma_f64 v[32:33], -v[14:15], v[30:31], 1.0
	v_fmac_f64_e32 v[30:31], v[30:31], v[32:33]
	v_div_scale_f64 v[32:33], vcc, 1.0, v[12:13], 1.0
	v_mul_f64 v[38:39], v[32:33], v[30:31]
	v_fma_f64 v[14:15], -v[14:15], v[38:39], v[32:33]
	s_nop 1
	v_div_fmas_f64 v[14:15], v[14:15], v[30:31], v[38:39]
	v_div_fixup_f64 v[14:15], v[14:15], v[12:13], 1.0
	v_mul_f64 v[12:13], v[10:11], v[14:15]
.LBB32_114:                             ;   in Loop: Header=BB32_47 Depth=2
	s_or_b64 exec, exec, s[40:41]
	v_cndmask_b32_e64 v10, 1, -1, s[14:15]
	v_xor_b32_e32 v22, 0x80000000, v15
	v_cmp_eq_u32_e32 vcc, v54, v10
	v_accvgpr_read_b32 v4, a23
	v_cndmask_b32_e32 v11, v15, v13, vcc
	v_cndmask_b32_e32 v10, v14, v12, vcc
	;; [unrolled: 1-line block ×4, first 2 shown]
	v_add_co_u32_e32 v14, vcc, v4, v28
	v_accvgpr_read_b32 v4, a22
	v_addc_co_u32_e32 v15, vcc, v4, v29, vcc
	flat_store_dwordx2 v[14:15], v[12:13]
	v_accvgpr_read_b32 v12, a32
	v_accvgpr_read_b32 v13, a33
	v_add_co_u32_e32 v12, vcc, v14, v12
	v_addc_co_u32_e32 v13, vcc, v15, v13, vcc
	flat_store_dwordx2 v[12:13], v[10:11]
	flat_store_dwordx4 v[60:61], v[16:19]
	buffer_load_dword v10, off, s[0:3], s32 offset:112 ; 4-byte Folded Reload
	s_nop 0
	buffer_load_dword v11, off, s[0:3], s32 offset:116 ; 4-byte Folded Reload
	v_accvgpr_read_b32 v33, a11
	v_accvgpr_read_b32 v32, a10
	s_waitcnt vmcnt(0)
	v_mov_b32_e32 v4, v10
	v_mov_b32_e32 v11, v10
	buffer_store_dword v4, off, s[0:3], s32 offset:112 ; 4-byte Folded Spill
	s_nop 0
	buffer_store_dword v5, off, s[0:3], s32 offset:116 ; 4-byte Folded Spill
	flat_store_dwordx2 v[26:27], v[10:11]
	v_add_u32_e32 v10, 2, v58
	v_accvgpr_read_b32 v4, a8
	ds_write_b32 v0, v10
	s_or_b64 exec, exec, s[38:39]
                                        ; implicit-def: $vgpr60_vgpr61
                                        ; implicit-def: $vgpr54_vgpr55
                                        ; implicit-def: $vgpr10
.LBB32_115:                             ;   in Loop: Header=BB32_47 Depth=2
	s_andn2_saveexec_b64 s[14:15], s[36:37]
	s_cbranch_execz .LBB32_117
.LBB32_116:                             ;   in Loop: Header=BB32_47 Depth=2
	flat_store_dwordx2 v[60:61], v[54:55]
	ds_write_b32 v0, v10
.LBB32_117:                             ;   in Loop: Header=BB32_47 Depth=2
	s_or_b64 exec, exec, s[14:15]
.LBB32_118:                             ;   in Loop: Header=BB32_47 Depth=2
	s_or_b64 exec, exec, s[34:35]
	s_waitcnt lgkmcnt(0)
	s_barrier
	s_waitcnt vmcnt(0)
	ds_read_b32 v58, v1
	ds_read_b32 v1, v0
	s_waitcnt lgkmcnt(0)
	v_cmp_ne_u32_e32 vcc, v58, v1
	s_and_saveexec_b64 s[34:35], vcc
	s_cbranch_execz .LBB32_46
; %bb.119:                              ;   in Loop: Header=BB32_47 Depth=2
	s_and_saveexec_b64 s[36:37], s[10:11]
	s_cbranch_execz .LBB32_45
; %bb.120:                              ;   in Loop: Header=BB32_47 Depth=2
	v_accvgpr_read_b32 v10, a10
	v_accvgpr_read_b32 v11, a11
	global_load_dword v1, v[10:11], off offset:16
	v_accvgpr_read_b32 v4, a23
	s_mov_b64 s[38:39], 0
	s_waitcnt vmcnt(0)
	ds_read_b32 v10, v1
	buffer_load_dword v12, off, s[0:3], s32 offset:112 ; 4-byte Folded Reload
	buffer_load_dword v13, off, s[0:3], s32 offset:116 ; 4-byte Folded Reload
	s_waitcnt lgkmcnt(0)
	v_mul_lo_u32 v14, v10, v20
	v_sub_u32_e32 v1, v58, v10
	v_ashrrev_i32_e32 v15, 31, v14
	v_mad_i64_i32 v[16:17], s[14:15], v1, v20, 0
	v_lshlrev_b64 v[14:15], 3, v[14:15]
	v_ashrrev_i32_e32 v11, 31, v10
	v_lshlrev_b64 v[10:11], 3, v[10:11]
	v_lshlrev_b64 v[16:17], 3, v[16:17]
	v_cmp_lt_i32_e32 vcc, 0, v1
	s_waitcnt vmcnt(0)
	v_mov_b32_e32 v13, v12
	v_add_u32_e32 v12, -1, v1
	v_lshlrev_b64 v[18:19], 3, v[12:13]
	v_accvgpr_read_b32 v13, a7
	v_add_co_u32_e64 v30, s[14:15], v13, v14
	v_accvgpr_read_b32 v13, a6
	v_addc_co_u32_e64 v31, s[14:15], v13, v15, s[14:15]
	v_mad_u64_u32 v[14:15], s[14:15], v48, v12, v[14:15]
	v_add_co_u32_e64 v10, s[14:15], v10, v18
	v_addc_co_u32_e64 v11, s[14:15], v11, v19, s[14:15]
	v_add_co_u32_e64 v32, s[14:15], v30, v16
	v_addc_co_u32_e64 v33, s[14:15], v31, v17, s[14:15]
	v_mov_b32_e32 v16, v15
	v_add_co_u32_e64 v10, s[14:15], v4, v10
	v_accvgpr_read_b32 v4, a22
	v_addc_co_u32_e64 v11, s[14:15], v4, v11, s[14:15]
	v_mad_u64_u32 v[12:13], s[14:15], v49, v12, v[16:17]
	v_accvgpr_read_b32 v4, a36
	v_mov_b32_e32 v13, v12
	v_add_co_u32_e64 v12, s[14:15], v4, v14
	v_accvgpr_read_b32 v4, a37
	v_accvgpr_read_b32 v17, a15
	v_addc_co_u32_e64 v13, s[14:15], v4, v13, s[14:15]
	v_accvgpr_read_b32 v16, a14
	s_branch .LBB32_122
.LBB32_121:                             ;   in Loop: Header=BB32_122 Depth=3
	s_or_b64 exec, exec, s[40:41]
	v_add_u32_e32 v16, v16, v24
	v_cmp_ge_i32_e64 s[14:15], v16, v2
	s_or_b64 s[38:39], s[14:15], s[38:39]
	v_add_co_u32_e64 v12, s[14:15], v12, v36
	v_addc_co_u32_e64 v13, s[14:15], v13, v37, s[14:15]
	s_waitcnt vmcnt(0) lgkmcnt(0)
	flat_store_dwordx2 v[18:19], v[28:29]
	s_andn2_b64 exec, exec, s[38:39]
	s_cbranch_execz .LBB32_45
.LBB32_122:                             ;   Parent Loop BB32_8 Depth=1
                                        ;     Parent Loop BB32_47 Depth=2
                                        ; =>    This Loop Header: Depth=3
                                        ;         Child Loop BB32_124 Depth 4
	v_ashrrev_i32_e32 v17, 31, v16
	v_lshlrev_b64 v[14:15], 3, v[16:17]
	v_add_co_u32_e64 v18, s[14:15], v32, v14
	v_addc_co_u32_e64 v19, s[14:15], v33, v15, s[14:15]
	flat_load_dwordx2 v[28:29], v[18:19]
	v_add_co_u32_e64 v18, s[14:15], v30, v14
	v_addc_co_u32_e64 v19, s[14:15], v31, v15, s[14:15]
	s_and_saveexec_b64 s[40:41], vcc
	s_cbranch_execz .LBB32_121
; %bb.123:                              ;   in Loop: Header=BB32_122 Depth=3
	s_mov_b64 s[42:43], 0
	v_pk_mov_b32 v[14:15], v[10:11], v[10:11] op_sel:[0,1]
	v_pk_mov_b32 v[26:27], v[12:13], v[12:13] op_sel:[0,1]
	v_mov_b32_e32 v17, v1
.LBB32_124:                             ;   Parent Loop BB32_8 Depth=1
                                        ;     Parent Loop BB32_47 Depth=2
                                        ;       Parent Loop BB32_122 Depth=3
                                        ; =>      This Inner Loop Header: Depth=4
	v_add_co_u32_e64 v38, s[14:15], v14, v3
	v_addc_co_u32_e64 v39, s[14:15], v15, v51, s[14:15]
	flat_load_dwordx2 v[52:53], v[26:27]
	flat_load_dwordx2 v[54:55], v[14:15]
	s_nop 0
	flat_load_dwordx2 v[38:39], v[38:39]
	s_waitcnt vmcnt(0) lgkmcnt(0)
	v_pk_mov_b32 v[44:45], v[28:29], v[28:29] op_sel:[0,1]
	v_mad_u64_u32 v[28:29], s[14:15], v17, v20, 0
	v_add_co_u32_e64 v26, s[14:15], v26, v62
	v_addc_co_u32_e64 v27, s[14:15], v27, v50, s[14:15]
	v_mov_b32_e32 v46, v29
	v_add_co_u32_e64 v14, s[14:15], -8, v14
	v_mad_u64_u32 v[46:47], s[44:45], v17, v21, v[46:47]
	v_add_u32_e32 v22, -1, v17
	v_addc_co_u32_e64 v15, s[14:15], -1, v15, s[14:15]
	v_mov_b32_e32 v29, v46
	v_cmp_eq_u32_e64 s[14:15], 0, v22
	v_lshlrev_b64 v[28:29], 3, v[28:29]
	s_or_b64 s[42:43], s[14:15], s[42:43]
	v_add_co_u32_e64 v46, s[14:15], v18, v28
	v_addc_co_u32_e64 v47, s[14:15], v19, v29, s[14:15]
	v_mov_b32_e32 v17, v22
	v_mul_f64 v[28:29], v[54:55], v[52:53]
	v_mul_f64 v[52:53], v[38:39], v[52:53]
	v_fmac_f64_e32 v[28:29], v[44:45], v[38:39]
	v_fma_f64 v[38:39], v[44:45], v[54:55], -v[52:53]
	flat_store_dwordx2 v[46:47], v[38:39]
	s_andn2_b64 exec, exec, s[42:43]
	s_cbranch_execnz .LBB32_124
; %bb.125:                              ;   in Loop: Header=BB32_122 Depth=3
	s_or_b64 exec, exec, s[42:43]
	s_branch .LBB32_121
.LBB32_126:                             ;   in Loop: Header=BB32_47 Depth=2
	s_or_b64 exec, exec, s[38:39]
                                        ; implicit-def: $vgpr60_vgpr61
                                        ; implicit-def: $vgpr54_vgpr55
                                        ; implicit-def: $vgpr10
	s_andn2_saveexec_b64 s[14:15], s[36:37]
	s_cbranch_execnz .LBB32_116
	s_branch .LBB32_117
.LBB32_127:                             ;   in Loop: Header=BB32_8 Depth=1
	v_lshlrev_b64 v[0:1], 3, v[16:17]
	v_add_co_u32_e32 v10, vcc, v7, v0
	v_addc_co_u32_e32 v11, vcc, v4, v1, vcc
	flat_load_dwordx2 v[12:13], v[10:11]
	v_accvgpr_write_b32 a0, v16
	v_add_co_u32_e32 v18, vcc, v5, v0
	v_accvgpr_write_b32 a1, v17
	v_addc_co_u32_e32 v19, vcc, v6, v1, vcc
	s_mov_b64 s[30:31], 0
	v_pk_mov_b32 v[26:27], v[16:17], v[16:17] op_sel:[0,1]
                                        ; implicit-def: $sgpr28_sgpr29
                                        ; implicit-def: $sgpr36_sgpr37
                                        ; implicit-def: $sgpr34_sgpr35
	s_branch .LBB32_129
.LBB32_128:                             ;   in Loop: Header=BB32_129 Depth=2
	s_or_b64 exec, exec, s[12:13]
	s_xor_b64 s[12:13], s[34:35], -1
	s_and_b64 vcc, exec, s[36:37]
	s_or_b64 s[30:31], vcc, s[30:31]
	s_andn2_b64 s[28:29], s[28:29], exec
	s_and_b64 s[12:13], s[12:13], exec
	s_or_b64 s[28:29], s[28:29], s[12:13]
	s_andn2_b64 exec, exec, s[30:31]
	s_cbranch_execz .LBB32_131
.LBB32_129:                             ;   Parent Loop BB32_8 Depth=1
                                        ; =>  This Inner Loop Header: Depth=2
	s_waitcnt vmcnt(0) lgkmcnt(0)
	v_cmp_lt_f64_e64 vcc, |v[12:13]|, s[20:21]
	v_cndmask_b32_e64 v0, 0, 1, vcc
	v_lshlrev_b32_e32 v0, 8, v0
	v_ldexp_f64 v[14:15], |v[12:13]|, v0
	flat_load_dwordx2 v[12:13], v[10:11] offset:8
	v_pk_mov_b32 v[56:57], v[18:19], v[18:19] op_sel:[0,1]
	flat_load_dwordx2 v[18:19], v[18:19]
	v_rsq_f64_e32 v[0:1], v[14:15]
	v_accvgpr_write_b32 a41, v27
	v_accvgpr_write_b32 a40, v26
	v_mov_b32_e32 v23, 0xffffff80
	v_mul_f64 v[26:27], v[14:15], v[0:1]
	v_mul_f64 v[0:1], v[0:1], 0.5
	v_fma_f64 v[28:29], -v[0:1], v[26:27], 0.5
	v_fmac_f64_e32 v[26:27], v[26:27], v[28:29]
	v_fmac_f64_e32 v[0:1], v[0:1], v[28:29]
	v_fma_f64 v[28:29], -v[26:27], v[26:27], v[14:15]
	v_fmac_f64_e32 v[26:27], v[28:29], v[0:1]
	v_fma_f64 v[28:29], -v[26:27], v[26:27], v[14:15]
	v_cndmask_b32_e32 v17, 0, v23, vcc
	v_fmac_f64_e32 v[26:27], v[28:29], v[0:1]
	v_ldexp_f64 v[0:1], v[26:27], v17
	v_mov_b32_e32 v22, 0x260
	v_cmp_class_f64_e64 s[12:13], v[14:15], v22
	v_cndmask_b32_e64 v1, v1, v15, s[12:13]
	v_cndmask_b32_e64 v0, v0, v14, s[12:13]
	s_or_b64 s[34:35], s[34:35], exec
	s_or_b64 s[36:37], s[36:37], exec
	s_waitcnt vmcnt(0) lgkmcnt(0)
	v_cmp_lt_f64_e64 vcc, |v[12:13]|, s[20:21]
	v_cndmask_b32_e64 v17, 0, 1, vcc
	v_lshlrev_b32_e32 v17, 8, v17
	v_ldexp_f64 v[26:27], |v[12:13]|, v17
	v_rsq_f64_e32 v[28:29], v[26:27]
	v_cndmask_b32_e32 v17, 0, v23, vcc
	v_cmp_class_f64_e32 vcc, v[26:27], v22
	v_mul_f64 v[14:15], v[26:27], v[28:29]
	v_mul_f64 v[28:29], v[28:29], 0.5
	v_fma_f64 v[30:31], -v[28:29], v[14:15], 0.5
	v_fmac_f64_e32 v[14:15], v[14:15], v[30:31]
	v_fmac_f64_e32 v[28:29], v[28:29], v[30:31]
	v_fma_f64 v[30:31], -v[14:15], v[14:15], v[26:27]
	v_fmac_f64_e32 v[14:15], v[30:31], v[28:29]
	v_fma_f64 v[30:31], -v[14:15], v[14:15], v[26:27]
	v_fmac_f64_e32 v[14:15], v[30:31], v[28:29]
	v_ldexp_f64 v[14:15], v[14:15], v17
	v_cndmask_b32_e32 v15, v15, v27, vcc
	v_cndmask_b32_e32 v14, v14, v26, vcc
	v_mul_f64 v[0:1], v[0:1], v[14:15]
	v_accvgpr_read_b32 v14, a20
	v_accvgpr_read_b32 v15, a21
	v_mul_f64 v[0:1], v[0:1], v[14:15]
	v_cmp_nle_f64_e64 vcc, |v[18:19]|, v[0:1]
                                        ; implicit-def: $vgpr26_vgpr27
                                        ; implicit-def: $vgpr18_vgpr19
	s_and_saveexec_b64 s[12:13], vcc
	s_cbranch_execz .LBB32_128
; %bb.130:                              ;   in Loop: Header=BB32_129 Depth=2
	v_add_co_u32_e32 v10, vcc, 8, v10
	v_addc_co_u32_e32 v11, vcc, 0, v11, vcc
	v_accvgpr_read_b32 v0, a40
	v_accvgpr_read_b32 v1, a41
	v_add_co_u32_e32 v26, vcc, 1, v0
	v_addc_co_u32_e32 v27, vcc, 0, v1, vcc
	v_add_co_u32_e32 v18, vcc, 8, v56
	v_addc_co_u32_e32 v19, vcc, 0, v57, vcc
	v_accvgpr_read_b32 v0, a24
	v_cmp_ge_i32_e32 vcc, v26, v0
	s_andn2_b64 s[36:37], s[36:37], exec
	s_and_b64 vcc, vcc, exec
	s_andn2_b64 s[34:35], s[34:35], exec
	s_or_b64 s[36:37], s[36:37], vcc
	v_accvgpr_read_b32 v1, a25
	s_branch .LBB32_128
.LBB32_131:                             ;   in Loop: Header=BB32_8 Depth=1
	s_or_b64 exec, exec, s[30:31]
	s_andn2_b64 s[24:25], s[24:25], exec
	s_and_b64 s[28:29], s[28:29], exec
	v_accvgpr_read_b32 v12, a24
	v_accvgpr_read_b32 v19, a1
	s_mov_b64 s[12:13], exec
	s_or_b64 s[24:25], s[24:25], s[28:29]
	v_accvgpr_read_b32 v13, a25
	v_mov_b32_e32 v1, v12
	v_accvgpr_read_b32 v18, a0
	s_or_b64 exec, exec, s[26:27]
	s_and_saveexec_b64 s[26:27], s[24:25]
	s_cbranch_execz .LBB32_17
.LBB32_132:                             ;   in Loop: Header=BB32_8 Depth=1
	global_load_dword v0, v[32:33], off offset:4
	s_andn2_b64 s[12:13], s[12:13], exec
	s_waitcnt vmcnt(0)
	ds_write_b32 v0, v1
	s_or_b64 exec, exec, s[26:27]
	s_and_saveexec_b64 s[24:25], s[12:13]
	s_cbranch_execnz .LBB32_18
	s_branch .LBB32_19
.LBB32_133:                             ;   in Loop: Header=BB32_8 Depth=1
	s_or_b64 exec, exec, s[30:31]
.LBB32_134:                             ;   in Loop: Header=BB32_8 Depth=1
	s_or_b64 exec, exec, s[28:29]
                                        ; implicit-def: $vgpr0
                                        ; implicit-def: $vgpr14
                                        ; implicit-def: $vgpr58
                                        ; implicit-def: $vgpr26
.LBB32_135:                             ;   in Loop: Header=BB32_8 Depth=1
	s_andn2_saveexec_b64 s[14:15], s[26:27]
	s_cbranch_execz .LBB32_222
; %bb.136:                              ;   in Loop: Header=BB32_8 Depth=1
	s_and_saveexec_b64 s[26:27], s[12:13]
	s_cbranch_execz .LBB32_221
; %bb.137:                              ;   in Loop: Header=BB32_8 Depth=1
	s_mov_b64 s[28:29], 0
	s_branch .LBB32_140
.LBB32_138:                             ;   in Loop: Header=BB32_140 Depth=2
	s_or_b64 exec, exec, s[34:35]
	s_waitcnt lgkmcnt(0)
	s_barrier
	ds_read_b32 v58, v0
	v_accvgpr_read_b32 v33, a11
	v_accvgpr_read_b32 v4, a8
	;; [unrolled: 1-line block ×3, first 2 shown]
.LBB32_139:                             ;   in Loop: Header=BB32_140 Depth=2
	s_or_b64 exec, exec, s[30:31]
	v_accvgpr_read_b32 v10, a42
	v_accvgpr_read_b32 v1, a38
	ds_read_b32 v14, v10
	ds_read_b32 v26, v1
	v_accvgpr_read_b32 v1, a9
	v_accvgpr_read_b32 v11, a43
	s_waitcnt lgkmcnt(0)
	v_cmp_lt_i32_e32 vcc, v58, v14
	v_cmp_ge_i32_e64 s[12:13], v26, v1
	s_or_b64 s[12:13], vcc, s[12:13]
	s_and_b64 s[12:13], exec, s[12:13]
	s_or_b64 s[28:29], s[12:13], s[28:29]
	s_andn2_b64 exec, exec, s[28:29]
	s_cbranch_execz .LBB32_220
.LBB32_140:                             ;   Parent Loop BB32_8 Depth=1
                                        ; =>  This Loop Header: Depth=2
                                        ;       Child Loop BB32_177 Depth 3
                                        ;       Child Loop BB32_162 Depth 3
	;; [unrolled: 1-line block ×3, first 2 shown]
                                        ;         Child Loop BB32_217 Depth 4
                                        ; implicit-def: $vgpr1
	s_and_saveexec_b64 s[12:13], s[4:5]
	s_xor_b64 s[12:13], exec, s[12:13]
	s_cbranch_execz .LBB32_142
; %bb.141:                              ;   in Loop: Header=BB32_140 Depth=2
	global_load_dword v1, v[32:33], off offset:4
                                        ; implicit-def: $vgpr58
                                        ; implicit-def: $vgpr14
                                        ; implicit-def: $vgpr26
.LBB32_142:                             ;   in Loop: Header=BB32_140 Depth=2
	s_andn2_saveexec_b64 s[30:31], s[12:13]
	s_cbranch_execz .LBB32_211
; %bb.143:                              ;   in Loop: Header=BB32_140 Depth=2
	v_cmp_le_i32_e32 vcc, v58, v14
	s_mov_b64 s[38:39], 0
	v_ashrrev_i32_e32 v59, 31, v58
	s_mov_b64 s[12:13], 0
                                        ; implicit-def: $vgpr10_vgpr11
	s_and_saveexec_b64 s[34:35], vcc
	s_xor_b64 vcc, exec, s[34:35]
	s_cbranch_execnz .LBB32_174
; %bb.144:                              ;   in Loop: Header=BB32_140 Depth=2
	s_or_saveexec_b64 s[34:35], vcc
	v_mov_b32_e32 v16, v58
	s_xor_b64 exec, exec, s[34:35]
	s_cbranch_execnz .LBB32_175
.LBB32_145:                             ;   in Loop: Header=BB32_140 Depth=2
	s_or_b64 exec, exec, s[34:35]
                                        ; implicit-def: $vgpr1
	s_and_saveexec_b64 vcc, s[12:13]
	s_cbranch_execnz .LBB32_180
.LBB32_146:                             ;   in Loop: Header=BB32_140 Depth=2
	s_or_b64 exec, exec, vcc
	s_and_saveexec_b64 s[12:13], s[38:39]
	s_cbranch_execz .LBB32_148
.LBB32_147:                             ;   in Loop: Header=BB32_140 Depth=2
	global_load_dword v1, v[32:33], off offset:4
	global_load_dword v12, v[32:33], off offset:16
	buffer_load_dword v10, off, s[0:3], s32 offset:112 ; 4-byte Folded Reload
	buffer_load_dword v11, off, s[0:3], s32 offset:116 ; 4-byte Folded Reload
	s_waitcnt vmcnt(0)
	v_mov_b32_e32 v16, v10
	v_mov_b32_e32 v17, v10
	v_accvgpr_read_b32 v11, a3
	v_mov_b32_e32 v14, v16
	v_accvgpr_read_b32 v10, a2
	buffer_store_dword v14, off, s[0:3], s32 offset:112 ; 4-byte Folded Spill
	s_nop 0
	buffer_store_dword v15, off, s[0:3], s32 offset:116 ; 4-byte Folded Spill
	flat_store_dwordx2 v[40:41], v[16:17]
	v_mov_b32_e32 v16, v8
	ds_write_b32 v1, v8
	ds_write_b32 v12, v58
.LBB32_148:                             ;   in Loop: Header=BB32_140 Depth=2
	s_or_b64 exec, exec, s[12:13]
	v_lshlrev_b64 v[28:29], 3, v[10:11]
	v_add_co_u32_e32 v60, vcc, v7, v28
	v_addc_co_u32_e32 v61, vcc, v4, v29, vcc
	global_load_dword v59, v[32:33], off offset:8
	flat_load_dwordx2 v[54:55], v[60:61]
	v_cmp_ne_u32_e32 vcc, v16, v58
	v_add_u32_e32 v10, -1, v58
	s_waitcnt vmcnt(0) lgkmcnt(0)
	ds_write_b64 v59, v[54:55]
	s_and_saveexec_b64 s[12:13], vcc
	s_xor_b64 s[34:35], exec, s[12:13]
	s_cbranch_execz .LBB32_208
; %bb.149:                              ;   in Loop: Header=BB32_140 Depth=2
	v_cmp_ne_u32_e32 vcc, v16, v10
	v_ashrrev_i32_e32 v17, 31, v16
	s_and_saveexec_b64 s[12:13], vcc
	s_xor_b64 s[36:37], exec, s[12:13]
	s_cbranch_execz .LBB32_184
; %bb.150:                              ;   in Loop: Header=BB32_140 Depth=2
	v_add_co_u32_e32 v10, vcc, -8, v60
	v_addc_co_u32_e32 v11, vcc, -1, v61, vcc
	flat_load_dwordx2 v[12:13], v[10:11]
	v_accvgpr_read_b32 v10, a28
	v_add_co_u32_e32 v14, vcc, v10, v28
	v_accvgpr_read_b32 v10, a29
	v_addc_co_u32_e32 v15, vcc, v10, v29, vcc
	flat_load_dwordx2 v[10:11], v[14:15]
	v_lshlrev_b64 v[52:53], 3, v[16:17]
	v_add_co_u32_e32 v32, vcc, v7, v52
	v_accvgpr_write_b32 a45, v15
	v_addc_co_u32_e32 v33, vcc, v4, v53, vcc
	v_accvgpr_write_b32 a44, v14
	flat_load_dwordx2 v[14:15], v[32:33]
	buffer_load_dword v18, off, s[0:3], s32 offset:112 ; 4-byte Folded Reload
	buffer_load_dword v19, off, s[0:3], s32 offset:116 ; 4-byte Folded Reload
	v_add_u32_e32 v17, 1, v26
	v_accvgpr_read_b32 v4, a38
	ds_write_b32 v4, v17
	v_mov_b32_e32 v26, 0
	v_mov_b32_e32 v27, 0x3ff00000
	s_waitcnt vmcnt(0) lgkmcnt(0)
	v_add_f64 v[12:13], v[12:13], -v[54:55]
	v_add_f64 v[28:29], v[10:11], v[10:11]
	v_div_scale_f64 v[30:31], s[12:13], v[28:29], v[28:29], v[12:13]
	v_rcp_f64_e32 v[38:39], v[30:31]
	v_div_scale_f64 v[44:45], vcc, v[12:13], v[28:29], v[12:13]
	v_cmp_lt_i32_e64 s[12:13], v16, v58
	v_fma_f64 v[46:47], -v[30:31], v[38:39], 1.0
	v_fmac_f64_e32 v[38:39], v[38:39], v[46:47]
	v_fma_f64 v[46:47], -v[30:31], v[38:39], 1.0
	v_fmac_f64_e32 v[38:39], v[38:39], v[46:47]
	v_mul_f64 v[46:47], v[44:45], v[38:39]
	v_fma_f64 v[30:31], -v[30:31], v[46:47], v[44:45]
	v_div_fmas_f64 v[30:31], v[30:31], v[38:39], v[46:47]
	v_div_fixup_f64 v[12:13], v[30:31], v[28:29], v[12:13]
	v_fma_f64 v[28:29], v[12:13], v[12:13], 1.0
	v_cmp_gt_f64_e32 vcc, s[20:21], v[28:29]
	v_mov_b32_e32 v22, v18
	v_mov_b32_e32 v23, v18
	v_cndmask_b32_e64 v18, 0, 1, vcc
	v_lshlrev_b32_e32 v18, 8, v18
	v_ldexp_f64 v[28:29], v[28:29], v18
	v_rsq_f64_e32 v[30:31], v[28:29]
	v_mov_b32_e32 v4, v22
	buffer_store_dword v4, off, s[0:3], s32 offset:112 ; 4-byte Folded Spill
	s_nop 0
	buffer_store_dword v5, off, s[0:3], s32 offset:116 ; 4-byte Folded Spill
	v_mov_b32_e32 v4, 0xffffff80
	v_mul_f64 v[38:39], v[28:29], v[30:31]
	v_mul_f64 v[30:31], v[30:31], 0.5
	v_fma_f64 v[44:45], -v[30:31], v[38:39], 0.5
	v_fmac_f64_e32 v[38:39], v[38:39], v[44:45]
	v_fmac_f64_e32 v[30:31], v[30:31], v[44:45]
	v_fma_f64 v[44:45], -v[38:39], v[38:39], v[28:29]
	v_fmac_f64_e32 v[38:39], v[44:45], v[30:31]
	v_fma_f64 v[44:45], -v[38:39], v[38:39], v[28:29]
	v_cndmask_b32_e32 v17, 0, v4, vcc
	v_fmac_f64_e32 v[38:39], v[44:45], v[30:31]
	v_mov_b32_e32 v4, 0x260
	v_ldexp_f64 v[30:31], v[38:39], v17
	v_cmp_class_f64_e32 vcc, v[28:29], v4
	v_cndmask_b32_e32 v17, v31, v29, vcc
	v_cndmask_b32_e32 v28, v30, v28, vcc
	v_and_b32_e32 v18, 0x7fffffff, v17
	v_or_b32_e32 v17, 0x80000000, v17
	v_cmp_nle_f64_e32 vcc, 0, v[12:13]
	v_cndmask_b32_e32 v29, v18, v17, vcc
	v_add_f64 v[12:13], v[12:13], v[28:29]
	v_div_scale_f64 v[28:29], vcc, v[12:13], v[12:13], v[10:11]
	v_rcp_f64_e32 v[30:31], v[28:29]
	v_add_f64 v[14:15], v[14:15], -v[54:55]
	v_div_scale_f64 v[38:39], vcc, v[10:11], v[12:13], v[10:11]
	v_fma_f64 v[54:55], -v[28:29], v[30:31], 1.0
	v_fmac_f64_e32 v[30:31], v[30:31], v[54:55]
	v_fma_f64 v[54:55], -v[28:29], v[30:31], 1.0
	v_fmac_f64_e32 v[30:31], v[30:31], v[54:55]
	v_mul_f64 v[54:55], v[38:39], v[30:31]
	v_fma_f64 v[28:29], -v[28:29], v[54:55], v[38:39]
	v_div_fmas_f64 v[28:29], v[28:29], v[30:31], v[54:55]
	v_div_fixup_f64 v[10:11], v[28:29], v[12:13], v[10:11]
	v_add_f64 v[28:29], v[14:15], v[10:11]
	v_pk_mov_b32 v[10:11], 0, 0
	ds_write_b64 v59, v[22:23]
	s_and_saveexec_b64 s[38:39], s[12:13]
	s_cbranch_execz .LBB32_183
; %bb.151:                              ;   in Loop: Header=BB32_140 Depth=2
	v_add_co_u32_e32 v10, vcc, v5, v52
	v_addc_co_u32_e32 v11, vcc, v6, v53, vcc
	flat_load_dwordx2 v[10:11], v[10:11]
	v_pk_mov_b32 v[30:31], 0, 0
	s_waitcnt vmcnt(0) lgkmcnt(0)
	v_cmp_neq_f64_e32 vcc, 0, v[10:11]
	s_and_saveexec_b64 s[12:13], vcc
	s_cbranch_execz .LBB32_159
; %bb.152:                              ;   in Loop: Header=BB32_140 Depth=2
	v_mov_b32_e32 v30, 0
	v_cmp_neq_f64_e32 vcc, 0, v[28:29]
	v_mov_b32_e32 v31, 0x3ff00000
	v_pk_mov_b32 v[26:27], 0, 0
	s_and_saveexec_b64 s[40:41], vcc
	s_cbranch_execz .LBB32_158
; %bb.153:                              ;   in Loop: Header=BB32_140 Depth=2
	v_cmp_ngt_f64_e64 vcc, |v[10:11]|, |v[28:29]|
                                        ; implicit-def: $vgpr30_vgpr31
                                        ; implicit-def: $vgpr26_vgpr27
	s_and_saveexec_b64 s[42:43], vcc
	s_xor_b64 s[42:43], exec, s[42:43]
	s_cbranch_execz .LBB32_155
; %bb.154:                              ;   in Loop: Header=BB32_140 Depth=2
	v_div_scale_f64 v[12:13], vcc, v[28:29], v[28:29], -v[10:11]
	v_rcp_f64_e32 v[14:15], v[12:13]
	v_div_scale_f64 v[26:27], vcc, -v[10:11], v[28:29], -v[10:11]
	v_mov_b32_e32 v4, 0xffffff80
	v_fma_f64 v[30:31], -v[12:13], v[14:15], 1.0
	v_fmac_f64_e32 v[14:15], v[14:15], v[30:31]
	v_fma_f64 v[30:31], -v[12:13], v[14:15], 1.0
	v_fmac_f64_e32 v[14:15], v[14:15], v[30:31]
	v_mul_f64 v[30:31], v[26:27], v[14:15]
	v_fma_f64 v[12:13], -v[12:13], v[30:31], v[26:27]
	v_div_fmas_f64 v[12:13], v[12:13], v[14:15], v[30:31]
	v_div_fixup_f64 v[12:13], v[12:13], v[28:29], -v[10:11]
	v_fma_f64 v[14:15], v[12:13], v[12:13], 1.0
	v_cmp_gt_f64_e32 vcc, s[20:21], v[14:15]
	v_cndmask_b32_e64 v17, 0, 1, vcc
	v_lshlrev_b32_e32 v17, 8, v17
	v_ldexp_f64 v[14:15], v[14:15], v17
	v_rsq_f64_e32 v[26:27], v[14:15]
	v_cndmask_b32_e32 v17, 0, v4, vcc
	v_mov_b32_e32 v4, 0x260
	v_cmp_class_f64_e32 vcc, v[14:15], v4
	v_mul_f64 v[28:29], v[14:15], v[26:27]
	v_mul_f64 v[26:27], v[26:27], 0.5
	v_fma_f64 v[30:31], -v[26:27], v[28:29], 0.5
	v_fmac_f64_e32 v[28:29], v[28:29], v[30:31]
	v_fma_f64 v[38:39], -v[28:29], v[28:29], v[14:15]
	v_fmac_f64_e32 v[26:27], v[26:27], v[30:31]
	v_fmac_f64_e32 v[28:29], v[38:39], v[26:27]
	v_fma_f64 v[30:31], -v[28:29], v[28:29], v[14:15]
	v_fmac_f64_e32 v[28:29], v[30:31], v[26:27]
	v_ldexp_f64 v[26:27], v[28:29], v17
	v_cndmask_b32_e32 v15, v27, v15, vcc
	v_cndmask_b32_e32 v14, v26, v14, vcc
	v_div_scale_f64 v[26:27], vcc, v[14:15], v[14:15], 1.0
	v_rcp_f64_e32 v[28:29], v[26:27]
	v_fma_f64 v[30:31], -v[26:27], v[28:29], 1.0
	v_fmac_f64_e32 v[28:29], v[28:29], v[30:31]
	v_fma_f64 v[30:31], -v[26:27], v[28:29], 1.0
	v_fmac_f64_e32 v[28:29], v[28:29], v[30:31]
	v_div_scale_f64 v[30:31], vcc, 1.0, v[14:15], 1.0
	v_mul_f64 v[38:39], v[30:31], v[28:29]
	v_fma_f64 v[26:27], -v[26:27], v[38:39], v[30:31]
	s_nop 1
	v_div_fmas_f64 v[26:27], v[26:27], v[28:29], v[38:39]
	v_div_fixup_f64 v[26:27], v[26:27], v[14:15], 1.0
	v_mul_f64 v[30:31], v[12:13], v[26:27]
                                        ; implicit-def: $vgpr28_vgpr29
.LBB32_155:                             ;   in Loop: Header=BB32_140 Depth=2
	s_andn2_saveexec_b64 s[42:43], s[42:43]
	s_cbranch_execz .LBB32_157
; %bb.156:                              ;   in Loop: Header=BB32_140 Depth=2
	v_div_scale_f64 v[12:13], vcc, v[10:11], v[10:11], -v[28:29]
	v_rcp_f64_e32 v[14:15], v[12:13]
	v_div_scale_f64 v[26:27], vcc, -v[28:29], v[10:11], -v[28:29]
	v_mov_b32_e32 v4, 0xffffff80
	v_fma_f64 v[30:31], -v[12:13], v[14:15], 1.0
	v_fmac_f64_e32 v[14:15], v[14:15], v[30:31]
	v_fma_f64 v[30:31], -v[12:13], v[14:15], 1.0
	v_fmac_f64_e32 v[14:15], v[14:15], v[30:31]
	v_mul_f64 v[30:31], v[26:27], v[14:15]
	v_fma_f64 v[12:13], -v[12:13], v[30:31], v[26:27]
	v_div_fmas_f64 v[12:13], v[12:13], v[14:15], v[30:31]
	v_div_fixup_f64 v[12:13], v[12:13], v[10:11], -v[28:29]
	v_fma_f64 v[14:15], v[12:13], v[12:13], 1.0
	v_cmp_gt_f64_e32 vcc, s[20:21], v[14:15]
	v_cndmask_b32_e64 v17, 0, 1, vcc
	v_lshlrev_b32_e32 v17, 8, v17
	v_ldexp_f64 v[14:15], v[14:15], v17
	v_rsq_f64_e32 v[26:27], v[14:15]
	v_cndmask_b32_e32 v17, 0, v4, vcc
	v_mov_b32_e32 v4, 0x260
	v_cmp_class_f64_e32 vcc, v[14:15], v4
	v_mul_f64 v[28:29], v[14:15], v[26:27]
	v_mul_f64 v[26:27], v[26:27], 0.5
	v_fma_f64 v[30:31], -v[26:27], v[28:29], 0.5
	v_fmac_f64_e32 v[28:29], v[28:29], v[30:31]
	v_fma_f64 v[38:39], -v[28:29], v[28:29], v[14:15]
	v_fmac_f64_e32 v[26:27], v[26:27], v[30:31]
	v_fmac_f64_e32 v[28:29], v[38:39], v[26:27]
	v_fma_f64 v[30:31], -v[28:29], v[28:29], v[14:15]
	v_fmac_f64_e32 v[28:29], v[30:31], v[26:27]
	v_ldexp_f64 v[26:27], v[28:29], v17
	v_cndmask_b32_e32 v15, v27, v15, vcc
	v_cndmask_b32_e32 v14, v26, v14, vcc
	v_div_scale_f64 v[26:27], vcc, v[14:15], v[14:15], 1.0
	v_rcp_f64_e32 v[28:29], v[26:27]
	v_fma_f64 v[30:31], -v[26:27], v[28:29], 1.0
	v_fmac_f64_e32 v[28:29], v[28:29], v[30:31]
	v_fma_f64 v[30:31], -v[26:27], v[28:29], 1.0
	v_fmac_f64_e32 v[28:29], v[28:29], v[30:31]
	v_div_scale_f64 v[30:31], vcc, 1.0, v[14:15], 1.0
	v_mul_f64 v[38:39], v[30:31], v[28:29]
	v_fma_f64 v[26:27], -v[26:27], v[38:39], v[30:31]
	s_nop 1
	v_div_fmas_f64 v[26:27], v[26:27], v[28:29], v[38:39]
	v_div_fixup_f64 v[30:31], v[26:27], v[14:15], 1.0
	v_mul_f64 v[26:27], v[12:13], v[30:31]
.LBB32_157:                             ;   in Loop: Header=BB32_140 Depth=2
	s_or_b64 exec, exec, s[42:43]
.LBB32_158:                             ;   in Loop: Header=BB32_140 Depth=2
	s_or_b64 exec, exec, s[40:41]
.LBB32_159:                             ;   in Loop: Header=BB32_140 Depth=2
	s_or_b64 exec, exec, s[12:13]
	flat_load_dwordx4 v[44:47], v[32:33]
	v_accvgpr_read_b32 v4, a23
	v_add_co_u32_e32 v38, vcc, v4, v52
	v_accvgpr_read_b32 v4, a22
	v_addc_co_u32_e32 v39, vcc, v4, v53, vcc
	v_accvgpr_read_b32 v18, a32
	v_add_f64 v[28:29], v[26:27], v[26:27]
	v_accvgpr_read_b32 v19, a33
	v_add_co_u32_e32 v52, vcc, v38, v18
	v_add_u32_e32 v14, 1, v16
	v_addc_co_u32_e32 v53, vcc, v39, v19, vcc
	v_xor_b32_e32 v13, 0x80000000, v31
	v_mov_b32_e32 v12, v30
	v_cmp_lt_i32_e32 vcc, v14, v58
	s_waitcnt vmcnt(0) lgkmcnt(0)
	v_add_f64 v[54:55], v[46:47], -v[44:45]
	v_mul_f64 v[54:55], v[30:31], v[54:55]
	v_fma_f64 v[28:29], v[10:11], v[28:29], -v[54:55]
	v_mul_f64 v[54:55], v[28:29], -v[30:31]
	v_fma_f64 v[30:31], v[28:29], -v[30:31], v[44:45]
	v_fma_f64 v[28:29], v[26:27], v[28:29], -v[10:11]
	ds_write_b64 v59, v[54:55]
	flat_store_dwordx2 v[32:33], v[30:31]
	flat_store_dwordx2 v[38:39], v[26:27]
	;; [unrolled: 1-line block ×3, first 2 shown]
	s_and_saveexec_b64 s[12:13], vcc
	s_cbranch_execz .LBB32_182
; %bb.160:                              ;   in Loop: Header=BB32_140 Depth=2
	v_ashrrev_i32_e32 v15, 31, v14
	v_lshlrev_b64 v[10:11], 3, v[14:15]
	v_accvgpr_read_b32 v4, a23
	v_add_co_u32_e32 v32, vcc, v4, v10
	v_accvgpr_read_b32 v4, a22
	v_addc_co_u32_e32 v33, vcc, v4, v11, vcc
	v_add_co_u32_e32 v54, vcc, v7, v10
	v_accvgpr_read_b32 v4, a8
	v_addc_co_u32_e32 v55, vcc, v4, v11, vcc
	v_accvgpr_read_b32 v4, a28
	v_add_co_u32_e32 v52, vcc, v4, v10
	v_accvgpr_read_b32 v4, a29
	v_addc_co_u32_e32 v53, vcc, v4, v11, vcc
	s_mov_b32 s48, 1
	s_mov_b64 s[40:41], 0
	s_branch .LBB32_162
.LBB32_161:                             ;   in Loop: Header=BB32_162 Depth=3
	flat_load_dwordx4 v[44:47], v[54:55]
	ds_read_b64 v[14:15], v59
	v_add_co_u32_e32 v52, vcc, 8, v52
	v_addc_co_u32_e32 v53, vcc, 0, v53, vcc
	v_add_co_u32_e32 v18, vcc, 8, v54
	v_addc_co_u32_e32 v19, vcc, 0, v55, vcc
	v_accvgpr_read_b32 v22, a32
	v_mul_f64 v[10:11], v[26:27], v[10:11]
	v_add_f64 v[26:27], v[30:31], v[30:31]
	v_accvgpr_read_b32 v23, a33
	v_add_co_u32_e32 v22, vcc, v32, v22
	s_add_i32 s48, s48, 1
	v_addc_co_u32_e32 v23, vcc, v33, v23, vcc
	v_add_u32_e32 v17, s48, v16
	v_cmp_ge_i32_e32 vcc, v17, v58
	v_xor_b32_e32 v13, 0x80000000, v39
	v_mov_b32_e32 v12, v38
	s_or_b64 s[40:41], vcc, s[40:41]
	s_waitcnt vmcnt(0) lgkmcnt(0)
	v_add_f64 v[14:15], v[44:45], -v[14:15]
	v_add_f64 v[28:29], v[46:47], -v[14:15]
	v_mul_f64 v[28:29], v[38:39], v[28:29]
	v_fma_f64 v[26:27], v[10:11], v[26:27], -v[28:29]
	v_mul_f64 v[44:45], v[26:27], -v[38:39]
	v_fma_f64 v[14:15], v[26:27], -v[38:39], v[14:15]
	ds_write_b64 v59, v[44:45]
	flat_store_dwordx2 v[54:55], v[14:15]
	flat_store_dwordx2 v[32:33], v[30:31]
	;; [unrolled: 1-line block ×3, first 2 shown]
	v_add_co_u32_e32 v32, vcc, 8, v32
	v_fma_f64 v[28:29], v[30:31], v[26:27], -v[10:11]
	v_addc_co_u32_e32 v33, vcc, 0, v33, vcc
	v_pk_mov_b32 v[54:55], v[18:19], v[18:19] op_sel:[0,1]
	v_pk_mov_b32 v[26:27], v[30:31], v[30:31] op_sel:[0,1]
	s_andn2_b64 exec, exec, s[40:41]
	s_cbranch_execz .LBB32_181
.LBB32_162:                             ;   Parent Loop BB32_8 Depth=1
                                        ;     Parent Loop BB32_140 Depth=2
                                        ; =>    This Inner Loop Header: Depth=3
	flat_load_dwordx2 v[10:11], v[52:53] offset:8
	v_mov_b32_e32 v30, 0
	v_mov_b32_e32 v31, 0x3ff00000
	v_pk_mov_b32 v[38:39], 0, 0
	s_waitcnt vmcnt(0) lgkmcnt(0)
	v_mul_f64 v[12:13], v[12:13], v[10:11]
	v_cmp_neq_f64_e32 vcc, 0, v[12:13]
	s_and_saveexec_b64 s[42:43], vcc
	s_cbranch_execz .LBB32_172
; %bb.163:                              ;   in Loop: Header=BB32_162 Depth=3
	v_cmp_neq_f64_e32 vcc, 0, v[28:29]
                                        ; implicit-def: $vgpr38_vgpr39
                                        ; implicit-def: $vgpr30_vgpr31
	s_and_saveexec_b64 s[44:45], vcc
	s_xor_b64 s[44:45], exec, s[44:45]
	s_cbranch_execz .LBB32_169
; %bb.164:                              ;   in Loop: Header=BB32_162 Depth=3
	v_cmp_ngt_f64_e64 vcc, |v[12:13]|, |v[28:29]|
                                        ; implicit-def: $vgpr38_vgpr39
                                        ; implicit-def: $vgpr30_vgpr31
	s_and_saveexec_b64 s[46:47], vcc
	s_xor_b64 s[46:47], exec, s[46:47]
	s_cbranch_execz .LBB32_166
; %bb.165:                              ;   in Loop: Header=BB32_162 Depth=3
	v_div_scale_f64 v[14:15], vcc, v[28:29], v[28:29], -v[12:13]
	v_rcp_f64_e32 v[18:19], v[14:15]
	v_div_scale_f64 v[30:31], vcc, -v[12:13], v[28:29], -v[12:13]
	v_mov_b32_e32 v4, 0xffffff80
	v_fma_f64 v[38:39], -v[14:15], v[18:19], 1.0
	v_fmac_f64_e32 v[18:19], v[18:19], v[38:39]
	v_fma_f64 v[38:39], -v[14:15], v[18:19], 1.0
	v_fmac_f64_e32 v[18:19], v[18:19], v[38:39]
	v_mul_f64 v[38:39], v[30:31], v[18:19]
	v_fma_f64 v[14:15], -v[14:15], v[38:39], v[30:31]
	v_div_fmas_f64 v[14:15], v[14:15], v[18:19], v[38:39]
	v_div_fixup_f64 v[14:15], v[14:15], v[28:29], -v[12:13]
	v_fma_f64 v[18:19], v[14:15], v[14:15], 1.0
	v_cmp_gt_f64_e32 vcc, s[20:21], v[18:19]
	v_cndmask_b32_e64 v17, 0, 1, vcc
	v_lshlrev_b32_e32 v17, 8, v17
	v_ldexp_f64 v[18:19], v[18:19], v17
	v_rsq_f64_e32 v[30:31], v[18:19]
	v_cndmask_b32_e32 v17, 0, v4, vcc
	v_mov_b32_e32 v4, 0x260
	v_cmp_class_f64_e32 vcc, v[18:19], v4
	v_mul_f64 v[38:39], v[18:19], v[30:31]
	v_mul_f64 v[30:31], v[30:31], 0.5
	v_fma_f64 v[44:45], -v[30:31], v[38:39], 0.5
	v_fmac_f64_e32 v[38:39], v[38:39], v[44:45]
	v_fma_f64 v[46:47], -v[38:39], v[38:39], v[18:19]
	v_fmac_f64_e32 v[30:31], v[30:31], v[44:45]
	v_fmac_f64_e32 v[38:39], v[46:47], v[30:31]
	v_fma_f64 v[44:45], -v[38:39], v[38:39], v[18:19]
	v_fmac_f64_e32 v[38:39], v[44:45], v[30:31]
	v_ldexp_f64 v[30:31], v[38:39], v17
	v_cndmask_b32_e32 v19, v31, v19, vcc
	v_cndmask_b32_e32 v18, v30, v18, vcc
	v_div_scale_f64 v[30:31], vcc, v[18:19], v[18:19], 1.0
	v_rcp_f64_e32 v[38:39], v[30:31]
	v_fma_f64 v[44:45], -v[30:31], v[38:39], 1.0
	v_fmac_f64_e32 v[38:39], v[38:39], v[44:45]
	v_fma_f64 v[44:45], -v[30:31], v[38:39], 1.0
	v_fmac_f64_e32 v[38:39], v[38:39], v[44:45]
	v_div_scale_f64 v[44:45], vcc, 1.0, v[18:19], 1.0
	v_mul_f64 v[46:47], v[44:45], v[38:39]
	v_fma_f64 v[30:31], -v[30:31], v[46:47], v[44:45]
	s_nop 1
	v_div_fmas_f64 v[30:31], v[30:31], v[38:39], v[46:47]
	v_div_fixup_f64 v[30:31], v[30:31], v[18:19], 1.0
	v_mul_f64 v[38:39], v[14:15], v[30:31]
.LBB32_166:                             ;   in Loop: Header=BB32_162 Depth=3
	s_andn2_saveexec_b64 s[46:47], s[46:47]
	s_cbranch_execz .LBB32_168
; %bb.167:                              ;   in Loop: Header=BB32_162 Depth=3
	v_div_scale_f64 v[14:15], vcc, v[12:13], v[12:13], -v[28:29]
	v_rcp_f64_e32 v[30:31], v[14:15]
	v_div_scale_f64 v[38:39], vcc, -v[28:29], v[12:13], -v[28:29]
	v_mov_b32_e32 v4, 0xffffff80
	v_fma_f64 v[44:45], -v[14:15], v[30:31], 1.0
	v_fmac_f64_e32 v[30:31], v[30:31], v[44:45]
	v_fma_f64 v[44:45], -v[14:15], v[30:31], 1.0
	v_fmac_f64_e32 v[30:31], v[30:31], v[44:45]
	v_mul_f64 v[44:45], v[38:39], v[30:31]
	v_fma_f64 v[14:15], -v[14:15], v[44:45], v[38:39]
	v_div_fmas_f64 v[14:15], v[14:15], v[30:31], v[44:45]
	v_div_fixup_f64 v[14:15], v[14:15], v[12:13], -v[28:29]
	v_fma_f64 v[30:31], v[14:15], v[14:15], 1.0
	v_cmp_gt_f64_e32 vcc, s[20:21], v[30:31]
	v_cndmask_b32_e64 v17, 0, 1, vcc
	v_lshlrev_b32_e32 v17, 8, v17
	v_ldexp_f64 v[30:31], v[30:31], v17
	v_rsq_f64_e32 v[38:39], v[30:31]
	v_cndmask_b32_e32 v17, 0, v4, vcc
	v_mov_b32_e32 v4, 0x260
	v_cmp_class_f64_e32 vcc, v[30:31], v4
	v_mul_f64 v[44:45], v[30:31], v[38:39]
	v_mul_f64 v[38:39], v[38:39], 0.5
	v_fma_f64 v[46:47], -v[38:39], v[44:45], 0.5
	v_fmac_f64_e32 v[44:45], v[44:45], v[46:47]
	v_fma_f64 v[18:19], -v[44:45], v[44:45], v[30:31]
	v_fmac_f64_e32 v[38:39], v[38:39], v[46:47]
	v_fmac_f64_e32 v[44:45], v[18:19], v[38:39]
	v_fma_f64 v[18:19], -v[44:45], v[44:45], v[30:31]
	v_fmac_f64_e32 v[44:45], v[18:19], v[38:39]
	v_ldexp_f64 v[18:19], v[44:45], v17
	v_cndmask_b32_e32 v19, v19, v31, vcc
	v_cndmask_b32_e32 v18, v18, v30, vcc
	v_div_scale_f64 v[30:31], vcc, v[18:19], v[18:19], 1.0
	v_rcp_f64_e32 v[38:39], v[30:31]
	v_fma_f64 v[44:45], -v[30:31], v[38:39], 1.0
	v_fmac_f64_e32 v[38:39], v[38:39], v[44:45]
	v_fma_f64 v[44:45], -v[30:31], v[38:39], 1.0
	v_fmac_f64_e32 v[38:39], v[38:39], v[44:45]
	v_div_scale_f64 v[44:45], vcc, 1.0, v[18:19], 1.0
	v_mul_f64 v[46:47], v[44:45], v[38:39]
	v_fma_f64 v[30:31], -v[30:31], v[46:47], v[44:45]
	s_nop 1
	v_div_fmas_f64 v[30:31], v[30:31], v[38:39], v[46:47]
	v_div_fixup_f64 v[38:39], v[30:31], v[18:19], 1.0
	v_mul_f64 v[30:31], v[14:15], v[38:39]
.LBB32_168:                             ;   in Loop: Header=BB32_162 Depth=3
	s_or_b64 exec, exec, s[46:47]
	v_mul_f64 v[12:13], v[12:13], v[38:39]
	v_fma_f64 v[28:29], v[28:29], v[30:31], -v[12:13]
                                        ; implicit-def: $vgpr12_vgpr13
.LBB32_169:                             ;   in Loop: Header=BB32_162 Depth=3
	s_andn2_saveexec_b64 vcc, s[44:45]
; %bb.170:                              ;   in Loop: Header=BB32_162 Depth=3
	v_xor_b32_e32 v13, 0x80000000, v13
	v_mov_b32_e32 v38, 0
	v_mov_b32_e32 v39, 0x3ff00000
	v_pk_mov_b32 v[30:31], 0, 0
	v_pk_mov_b32 v[28:29], v[12:13], v[12:13] op_sel:[0,1]
; %bb.171:                              ;   in Loop: Header=BB32_162 Depth=3
	s_or_b64 exec, exec, vcc
.LBB32_172:                             ;   in Loop: Header=BB32_162 Depth=3
	s_or_b64 exec, exec, s[42:43]
	s_cmp_eq_u32 s48, 0
	s_cbranch_scc1 .LBB32_161
; %bb.173:                              ;   in Loop: Header=BB32_162 Depth=3
	flat_store_dwordx2 v[52:53], v[28:29]
	s_branch .LBB32_161
.LBB32_174:                             ;   in Loop: Header=BB32_140 Depth=2
	s_mov_b64 s[12:13], exec
	v_pk_mov_b32 v[10:11], v[58:59], v[58:59] op_sel:[0,1]
                                        ; implicit-def: $vgpr14
	s_or_saveexec_b64 s[34:35], vcc
	v_mov_b32_e32 v16, v58
	s_xor_b64 exec, exec, s[34:35]
	s_cbranch_execz .LBB32_145
.LBB32_175:                             ;   in Loop: Header=BB32_140 Depth=2
	v_lshlrev_b64 v[12:13], 3, v[58:59]
	s_waitcnt vmcnt(0)
	v_accvgpr_read_b32 v1, a34
	v_add_co_u32_e32 v10, vcc, v1, v12
	v_accvgpr_read_b32 v1, a35
	v_addc_co_u32_e32 v11, vcc, v1, v13, vcc
	v_accvgpr_read_b32 v1, a28
	v_accvgpr_write_b32 a2, v58
	v_add_co_u32_e32 v12, vcc, v1, v12
	v_accvgpr_read_b32 v1, a29
	v_accvgpr_write_b32 a3, v59
	v_addc_co_u32_e32 v13, vcc, v1, v13, vcc
	v_mov_b32_e32 v1, v58
                                        ; implicit-def: $sgpr36_sgpr37
                                        ; implicit-def: $sgpr42_sgpr43
                                        ; implicit-def: $sgpr40_sgpr41
	s_branch .LBB32_177
.LBB32_176:                             ;   in Loop: Header=BB32_177 Depth=3
	s_or_b64 exec, exec, s[44:45]
	s_xor_b64 vcc, s[40:41], -1
	s_and_b64 s[44:45], exec, s[42:43]
	s_or_b64 s[38:39], s[44:45], s[38:39]
	s_andn2_b64 s[36:37], s[36:37], exec
	s_and_b64 vcc, vcc, exec
	s_or_b64 s[36:37], s[36:37], vcc
	s_andn2_b64 exec, exec, s[38:39]
	s_cbranch_execz .LBB32_179
.LBB32_177:                             ;   Parent Loop BB32_8 Depth=1
                                        ;     Parent Loop BB32_140 Depth=2
                                        ; =>    This Inner Loop Header: Depth=3
	v_pk_mov_b32 v[40:41], v[12:13], v[12:13] op_sel:[0,1]
	flat_load_dwordx4 v[16:19], v[10:11]
	s_nop 0
	flat_load_dwordx2 v[12:13], v[12:13]
	v_mov_b32_e32 v8, v1
	s_or_b64 s[40:41], s[40:41], exec
	s_or_b64 s[42:43], s[42:43], exec
                                        ; implicit-def: $vgpr1
	s_waitcnt vmcnt(0) lgkmcnt(0)
	v_mul_f64 v[16:17], v[18:19], v[16:17]
	v_mul_f64 v[12:13], v[12:13], v[12:13]
	v_mul_f64 v[16:17], v[34:35], |v[16:17]|
	v_cmp_nle_f64_e64 vcc, |v[12:13]|, v[16:17]
                                        ; implicit-def: $vgpr12_vgpr13
	s_and_saveexec_b64 s[44:45], vcc
	s_cbranch_execz .LBB32_176
; %bb.178:                              ;   in Loop: Header=BB32_177 Depth=3
	v_add_co_u32_e32 v10, vcc, -8, v10
	v_addc_co_u32_e32 v11, vcc, -1, v11, vcc
	v_add_co_u32_e32 v12, vcc, -8, v40
	v_add_u32_e32 v1, -1, v8
	v_addc_co_u32_e32 v13, vcc, -1, v41, vcc
	v_cmp_le_i32_e32 vcc, v1, v14
	s_andn2_b64 s[42:43], s[42:43], exec
	s_and_b64 vcc, vcc, exec
	s_andn2_b64 s[40:41], s[40:41], exec
	s_or_b64 s[42:43], s[42:43], vcc
	s_branch .LBB32_176
.LBB32_179:                             ;   in Loop: Header=BB32_140 Depth=2
	s_or_b64 exec, exec, s[38:39]
	s_andn2_b64 s[12:13], s[12:13], exec
	s_and_b64 vcc, s[36:37], exec
	v_accvgpr_read_b32 v11, a3
	s_mov_b64 s[38:39], exec
	s_or_b64 s[12:13], s[12:13], vcc
	v_mov_b32_e32 v16, v14
	v_accvgpr_read_b32 v10, a2
	s_or_b64 exec, exec, s[34:35]
                                        ; implicit-def: $vgpr1
	s_and_saveexec_b64 vcc, s[12:13]
	s_cbranch_execz .LBB32_146
.LBB32_180:                             ;   in Loop: Header=BB32_140 Depth=2
	global_load_dword v1, v[32:33], off offset:4
	global_load_dword v12, v[32:33], off offset:16
	s_andn2_b64 s[38:39], s[38:39], exec
	s_waitcnt vmcnt(0)
	ds_write_b32 v1, v16
	ds_write_b32 v12, v58
	s_or_b64 exec, exec, vcc
	s_and_saveexec_b64 s[12:13], s[38:39]
	s_cbranch_execnz .LBB32_147
	s_branch .LBB32_148
.LBB32_181:                             ;   in Loop: Header=BB32_140 Depth=2
	s_or_b64 exec, exec, s[40:41]
.LBB32_182:                             ;   in Loop: Header=BB32_140 Depth=2
	s_or_b64 exec, exec, s[12:13]
	ds_read_b64 v[10:11], v59
.LBB32_183:                             ;   in Loop: Header=BB32_140 Depth=2
	s_or_b64 exec, exec, s[38:39]
	flat_load_dwordx2 v[12:13], v[60:61]
	v_accvgpr_read_b32 v33, a11
                                        ; implicit-def: $vgpr16
                                        ; implicit-def: $vgpr54_vgpr55
                                        ; implicit-def: $vgpr58
	v_accvgpr_read_b32 v4, a8
	v_accvgpr_read_b32 v32, a10
	s_waitcnt vmcnt(0) lgkmcnt(0)
	v_add_f64 v[10:11], v[12:13], -v[10:11]
	flat_store_dwordx2 v[60:61], v[10:11]
	v_accvgpr_read_b32 v10, a44
	v_accvgpr_read_b32 v11, a45
	flat_store_dwordx2 v[10:11], v[28:29]
                                        ; implicit-def: $vgpr28_vgpr29
                                        ; implicit-def: $vgpr60
.LBB32_184:                             ;   in Loop: Header=BB32_140 Depth=2
	s_andn2_saveexec_b64 s[36:37], s[36:37]
	s_cbranch_execz .LBB32_219
; %bb.185:                              ;   in Loop: Header=BB32_140 Depth=2
	v_lshlrev_b64 v[26:27], 3, v[16:17]
	v_add_co_u32_e32 v10, vcc, v7, v26
	v_addc_co_u32_e32 v11, vcc, v4, v27, vcc
	v_add_co_u32_e32 v12, vcc, v5, v26
	v_addc_co_u32_e32 v13, vcc, v6, v27, vcc
	flat_load_dwordx2 v[16:17], v[10:11]
	s_nop 0
	flat_load_dwordx2 v[10:11], v[12:13]
                                        ; implicit-def: $vgpr12_vgpr13
	s_waitcnt vmcnt(0) lgkmcnt(0)
	v_add_f64 v[32:33], v[16:17], -v[54:55]
	v_add_f64 v[52:53], v[10:11], v[10:11]
	v_cmp_ngt_f64_e64 s[12:13], |v[32:33]|, |v[52:53]|
	s_and_saveexec_b64 vcc, s[12:13]
	s_xor_b64 s[12:13], exec, vcc
	s_cbranch_execz .LBB32_191
; %bb.186:                              ;   in Loop: Header=BB32_140 Depth=2
	v_cmp_nlt_f64_e64 vcc, |v[32:33]|, |v[52:53]|
                                        ; implicit-def: $vgpr12_vgpr13
	s_and_saveexec_b64 s[38:39], vcc
	s_xor_b64 vcc, exec, s[38:39]
; %bb.187:                              ;   in Loop: Header=BB32_140 Depth=2
	v_mul_f64 v[12:13], |v[52:53]|, s[22:23]
; %bb.188:                              ;   in Loop: Header=BB32_140 Depth=2
	s_andn2_saveexec_b64 s[38:39], vcc
	s_cbranch_execz .LBB32_190
; %bb.189:                              ;   in Loop: Header=BB32_140 Depth=2
	v_and_b32_e32 v13, 0x7fffffff, v33
	v_mov_b32_e32 v12, v32
	v_and_b32_e32 v15, 0x7fffffff, v53
	v_mov_b32_e32 v14, v52
	v_div_scale_f64 v[18:19], vcc, v[14:15], v[14:15], v[12:13]
	v_rcp_f64_e32 v[30:31], v[18:19]
	v_div_scale_f64 v[12:13], vcc, v[12:13], v[14:15], v[12:13]
	v_mov_b32_e32 v4, 0xffffff80
	v_fma_f64 v[38:39], -v[18:19], v[30:31], 1.0
	v_fmac_f64_e32 v[30:31], v[30:31], v[38:39]
	v_fma_f64 v[38:39], -v[18:19], v[30:31], 1.0
	v_fmac_f64_e32 v[30:31], v[30:31], v[38:39]
	v_mul_f64 v[14:15], v[12:13], v[30:31]
	v_fma_f64 v[12:13], -v[18:19], v[14:15], v[12:13]
	v_div_fmas_f64 v[12:13], v[12:13], v[30:31], v[14:15]
	v_div_fixup_f64 v[12:13], v[12:13], |v[52:53]|, |v[32:33]|
	v_fma_f64 v[12:13], v[12:13], v[12:13], 1.0
	v_cmp_gt_f64_e32 vcc, s[20:21], v[12:13]
	v_cndmask_b32_e64 v14, 0, 1, vcc
	v_lshlrev_b32_e32 v14, 8, v14
	v_ldexp_f64 v[12:13], v[12:13], v14
	v_rsq_f64_e32 v[14:15], v[12:13]
	v_mul_f64 v[18:19], v[12:13], v[14:15]
	v_mul_f64 v[14:15], v[14:15], 0.5
	v_fma_f64 v[30:31], -v[14:15], v[18:19], 0.5
	v_fmac_f64_e32 v[18:19], v[18:19], v[30:31]
	v_fma_f64 v[38:39], -v[18:19], v[18:19], v[12:13]
	v_fmac_f64_e32 v[14:15], v[14:15], v[30:31]
	v_fmac_f64_e32 v[18:19], v[38:39], v[14:15]
	v_fma_f64 v[30:31], -v[18:19], v[18:19], v[12:13]
	v_fmac_f64_e32 v[18:19], v[30:31], v[14:15]
	v_cndmask_b32_e32 v14, 0, v4, vcc
	v_mov_b32_e32 v4, 0x260
	v_ldexp_f64 v[14:15], v[18:19], v14
	v_cmp_class_f64_e32 vcc, v[12:13], v4
	v_cndmask_b32_e32 v13, v15, v13, vcc
	v_cndmask_b32_e32 v12, v14, v12, vcc
	v_mul_f64 v[12:13], |v[52:53]|, v[12:13]
.LBB32_190:                             ;   in Loop: Header=BB32_140 Depth=2
	s_or_b64 exec, exec, s[38:39]
.LBB32_191:                             ;   in Loop: Header=BB32_140 Depth=2
	s_andn2_saveexec_b64 s[12:13], s[12:13]
	s_cbranch_execz .LBB32_193
; %bb.192:                              ;   in Loop: Header=BB32_140 Depth=2
	v_and_b32_e32 v13, 0x7fffffff, v53
	v_mov_b32_e32 v12, v52
	v_and_b32_e32 v15, 0x7fffffff, v33
	v_mov_b32_e32 v14, v32
	v_div_scale_f64 v[18:19], vcc, v[14:15], v[14:15], v[12:13]
	v_rcp_f64_e32 v[30:31], v[18:19]
	v_div_scale_f64 v[12:13], vcc, v[12:13], v[14:15], v[12:13]
	v_mov_b32_e32 v4, 0xffffff80
	v_fma_f64 v[38:39], -v[18:19], v[30:31], 1.0
	v_fmac_f64_e32 v[30:31], v[30:31], v[38:39]
	v_fma_f64 v[38:39], -v[18:19], v[30:31], 1.0
	v_fmac_f64_e32 v[30:31], v[30:31], v[38:39]
	v_mul_f64 v[14:15], v[12:13], v[30:31]
	v_fma_f64 v[12:13], -v[18:19], v[14:15], v[12:13]
	v_div_fmas_f64 v[12:13], v[12:13], v[30:31], v[14:15]
	v_div_fixup_f64 v[12:13], v[12:13], |v[32:33]|, |v[52:53]|
	v_fma_f64 v[12:13], v[12:13], v[12:13], 1.0
	v_cmp_gt_f64_e32 vcc, s[20:21], v[12:13]
	v_cndmask_b32_e64 v14, 0, 1, vcc
	v_lshlrev_b32_e32 v14, 8, v14
	v_ldexp_f64 v[12:13], v[12:13], v14
	v_rsq_f64_e32 v[14:15], v[12:13]
	v_mul_f64 v[18:19], v[12:13], v[14:15]
	v_mul_f64 v[14:15], v[14:15], 0.5
	v_fma_f64 v[30:31], -v[14:15], v[18:19], 0.5
	v_fmac_f64_e32 v[18:19], v[18:19], v[30:31]
	v_fma_f64 v[38:39], -v[18:19], v[18:19], v[12:13]
	v_fmac_f64_e32 v[14:15], v[14:15], v[30:31]
	v_fmac_f64_e32 v[18:19], v[38:39], v[14:15]
	v_fma_f64 v[30:31], -v[18:19], v[18:19], v[12:13]
	v_fmac_f64_e32 v[18:19], v[30:31], v[14:15]
	v_cndmask_b32_e32 v14, 0, v4, vcc
	v_mov_b32_e32 v4, 0x260
	v_ldexp_f64 v[14:15], v[18:19], v14
	v_cmp_class_f64_e32 vcc, v[12:13], v4
	v_cndmask_b32_e32 v13, v15, v13, vcc
	v_cndmask_b32_e32 v12, v14, v12, vcc
	v_mul_f64 v[12:13], |v[32:33]|, v[12:13]
.LBB32_193:                             ;   in Loop: Header=BB32_140 Depth=2
	s_or_b64 exec, exec, s[12:13]
	v_add_f64 v[14:15], v[16:17], v[54:55]
	v_cmp_gt_f64_e64 vcc, |v[16:17]|, |v[54:55]|
	v_cndmask_b32_e32 v31, v17, v55, vcc
	v_cndmask_b32_e32 v30, v16, v54, vcc
	v_cndmask_b32_e32 v39, v55, v17, vcc
	v_cndmask_b32_e32 v38, v54, v16, vcc
	v_cmp_ngt_f64_e32 vcc, 0, v[14:15]
                                        ; implicit-def: $vgpr54
                                        ; implicit-def: $vgpr18_vgpr19
	s_and_saveexec_b64 s[12:13], vcc
	s_xor_b64 s[12:13], exec, s[12:13]
	s_cbranch_execz .LBB32_199
; %bb.194:                              ;   in Loop: Header=BB32_140 Depth=2
	v_cmp_nlt_f64_e32 vcc, 0, v[14:15]
                                        ; implicit-def: $sgpr40
                                        ; implicit-def: $vgpr18_vgpr19
	s_and_saveexec_b64 s[38:39], vcc
	s_xor_b64 vcc, exec, s[38:39]
; %bb.195:                              ;   in Loop: Header=BB32_140 Depth=2
	v_mul_f64 v[16:17], v[12:13], 0.5
	v_mul_f64 v[18:19], v[12:13], -0.5
	s_mov_b32 s40, 1
                                        ; implicit-def: $vgpr14_vgpr15
                                        ; implicit-def: $vgpr38_vgpr39
                                        ; implicit-def: $vgpr10_vgpr11
                                        ; implicit-def: $vgpr30_vgpr31
; %bb.196:                              ;   in Loop: Header=BB32_140 Depth=2
	s_or_saveexec_b64 s[38:39], vcc
	v_mov_b32_e32 v54, s40
	s_xor_b64 exec, exec, s[38:39]
	s_cbranch_execz .LBB32_198
; %bb.197:                              ;   in Loop: Header=BB32_140 Depth=2
	v_add_f64 v[14:15], v[14:15], v[12:13]
	v_mul_f64 v[16:17], v[14:15], 0.5
	v_div_scale_f64 v[14:15], vcc, v[16:17], v[16:17], v[38:39]
	v_rcp_f64_e32 v[18:19], v[14:15]
	v_div_scale_f64 v[54:55], vcc, v[38:39], v[16:17], v[38:39]
	v_fma_f64 v[44:45], -v[14:15], v[18:19], 1.0
	v_fmac_f64_e32 v[18:19], v[18:19], v[44:45]
	v_fma_f64 v[44:45], -v[14:15], v[18:19], 1.0
	v_fmac_f64_e32 v[18:19], v[18:19], v[44:45]
	v_mul_f64 v[44:45], v[54:55], v[18:19]
	v_fma_f64 v[14:15], -v[14:15], v[44:45], v[54:55]
	v_div_scale_f64 v[54:55], s[40:41], v[16:17], v[16:17], v[10:11]
	v_rcp_f64_e32 v[46:47], v[54:55]
	v_div_fmas_f64 v[14:15], v[14:15], v[18:19], v[44:45]
	v_div_fixup_f64 v[14:15], v[14:15], v[16:17], v[38:39]
	v_fma_f64 v[18:19], -v[54:55], v[46:47], 1.0
	v_fmac_f64_e32 v[46:47], v[46:47], v[18:19]
	v_fma_f64 v[18:19], -v[54:55], v[46:47], 1.0
	v_fmac_f64_e32 v[46:47], v[46:47], v[18:19]
	v_div_scale_f64 v[18:19], vcc, v[10:11], v[16:17], v[10:11]
	v_mul_f64 v[38:39], v[18:19], v[46:47]
	v_fma_f64 v[18:19], -v[54:55], v[38:39], v[18:19]
	v_mov_b32_e32 v54, 1
	s_nop 0
	v_div_fmas_f64 v[18:19], v[18:19], v[46:47], v[38:39]
	v_div_fixup_f64 v[18:19], v[18:19], v[16:17], v[10:11]
	v_mul_f64 v[10:11], v[10:11], v[18:19]
	v_fma_f64 v[18:19], v[30:31], v[14:15], -v[10:11]
.LBB32_198:                             ;   in Loop: Header=BB32_140 Depth=2
	s_or_b64 exec, exec, s[38:39]
                                        ; implicit-def: $vgpr14_vgpr15
                                        ; implicit-def: $vgpr38_vgpr39
                                        ; implicit-def: $vgpr10_vgpr11
                                        ; implicit-def: $vgpr30_vgpr31
.LBB32_199:                             ;   in Loop: Header=BB32_140 Depth=2
	s_andn2_saveexec_b64 s[12:13], s[12:13]
	s_cbranch_execz .LBB32_201
; %bb.200:                              ;   in Loop: Header=BB32_140 Depth=2
	v_add_f64 v[14:15], v[14:15], -v[12:13]
	v_mul_f64 v[16:17], v[14:15], 0.5
	v_div_scale_f64 v[14:15], vcc, v[16:17], v[16:17], v[38:39]
	v_rcp_f64_e32 v[18:19], v[14:15]
	v_div_scale_f64 v[54:55], vcc, v[38:39], v[16:17], v[38:39]
	v_fma_f64 v[44:45], -v[14:15], v[18:19], 1.0
	v_fmac_f64_e32 v[18:19], v[18:19], v[44:45]
	v_fma_f64 v[44:45], -v[14:15], v[18:19], 1.0
	v_fmac_f64_e32 v[18:19], v[18:19], v[44:45]
	v_mul_f64 v[44:45], v[54:55], v[18:19]
	v_fma_f64 v[14:15], -v[14:15], v[44:45], v[54:55]
	v_div_scale_f64 v[54:55], s[38:39], v[16:17], v[16:17], v[10:11]
	v_rcp_f64_e32 v[46:47], v[54:55]
	v_div_fmas_f64 v[14:15], v[14:15], v[18:19], v[44:45]
	v_div_fixup_f64 v[14:15], v[14:15], v[16:17], v[38:39]
	v_fma_f64 v[18:19], -v[54:55], v[46:47], 1.0
	v_fmac_f64_e32 v[46:47], v[46:47], v[18:19]
	v_fma_f64 v[18:19], -v[54:55], v[46:47], 1.0
	v_fmac_f64_e32 v[46:47], v[46:47], v[18:19]
	v_div_scale_f64 v[18:19], vcc, v[10:11], v[16:17], v[10:11]
	v_mul_f64 v[38:39], v[18:19], v[46:47]
	v_fma_f64 v[18:19], -v[54:55], v[38:39], v[18:19]
	v_mov_b32_e32 v54, -1
	s_nop 0
	v_div_fmas_f64 v[18:19], v[18:19], v[46:47], v[38:39]
	v_div_fixup_f64 v[18:19], v[18:19], v[16:17], v[10:11]
	v_mul_f64 v[10:11], v[10:11], v[18:19]
	v_fma_f64 v[18:19], v[30:31], v[14:15], -v[10:11]
.LBB32_201:                             ;   in Loop: Header=BB32_140 Depth=2
	s_or_b64 exec, exec, s[12:13]
	v_xor_b32_e32 v10, 0x80000000, v13
	v_cmp_nle_f64_e64 s[12:13], 0, v[32:33]
	v_cndmask_b32_e64 v11, v13, v10, s[12:13]
	v_cndmask_b32_e64 v10, v12, v12, s[12:13]
	v_add_f64 v[10:11], v[32:33], v[10:11]
	v_cmp_ngt_f64_e64 vcc, |v[10:11]|, |v[52:53]|
                                        ; implicit-def: $vgpr12_vgpr13
                                        ; implicit-def: $vgpr14_vgpr15
	s_and_saveexec_b64 s[38:39], vcc
	s_xor_b64 s[38:39], exec, s[38:39]
	s_cbranch_execz .LBB32_205
; %bb.202:                              ;   in Loop: Header=BB32_140 Depth=2
	v_mov_b32_e32 v14, 0
	v_cmp_neq_f64_e32 vcc, 0, v[52:53]
	v_pk_mov_b32 v[12:13], 0, 0
	v_mov_b32_e32 v15, 0x3ff00000
	s_and_saveexec_b64 s[40:41], vcc
	s_cbranch_execz .LBB32_204
; %bb.203:                              ;   in Loop: Header=BB32_140 Depth=2
	v_div_scale_f64 v[12:13], vcc, v[52:53], v[52:53], -v[10:11]
	v_rcp_f64_e32 v[14:15], v[12:13]
	v_div_scale_f64 v[30:31], vcc, -v[10:11], v[52:53], -v[10:11]
	v_mov_b32_e32 v4, 0xffffff80
	v_fma_f64 v[32:33], -v[12:13], v[14:15], 1.0
	v_fmac_f64_e32 v[14:15], v[14:15], v[32:33]
	v_fma_f64 v[32:33], -v[12:13], v[14:15], 1.0
	v_fmac_f64_e32 v[14:15], v[14:15], v[32:33]
	v_mul_f64 v[32:33], v[30:31], v[14:15]
	v_fma_f64 v[12:13], -v[12:13], v[32:33], v[30:31]
	v_div_fmas_f64 v[12:13], v[12:13], v[14:15], v[32:33]
	v_div_fixup_f64 v[10:11], v[12:13], v[52:53], -v[10:11]
	v_fma_f64 v[12:13], v[10:11], v[10:11], 1.0
	v_cmp_gt_f64_e32 vcc, s[20:21], v[12:13]
	v_cndmask_b32_e64 v14, 0, 1, vcc
	v_lshlrev_b32_e32 v14, 8, v14
	v_ldexp_f64 v[12:13], v[12:13], v14
	v_rsq_f64_e32 v[14:15], v[12:13]
	v_mul_f64 v[30:31], v[12:13], v[14:15]
	v_mul_f64 v[14:15], v[14:15], 0.5
	v_fma_f64 v[32:33], -v[14:15], v[30:31], 0.5
	v_fmac_f64_e32 v[30:31], v[30:31], v[32:33]
	v_fma_f64 v[38:39], -v[30:31], v[30:31], v[12:13]
	v_fmac_f64_e32 v[14:15], v[14:15], v[32:33]
	v_fmac_f64_e32 v[30:31], v[38:39], v[14:15]
	v_fma_f64 v[32:33], -v[30:31], v[30:31], v[12:13]
	v_fmac_f64_e32 v[30:31], v[32:33], v[14:15]
	v_cndmask_b32_e32 v14, 0, v4, vcc
	v_mov_b32_e32 v4, 0x260
	v_ldexp_f64 v[14:15], v[30:31], v14
	v_cmp_class_f64_e32 vcc, v[12:13], v4
	v_cndmask_b32_e32 v13, v15, v13, vcc
	v_cndmask_b32_e32 v12, v14, v12, vcc
	v_div_scale_f64 v[14:15], vcc, v[12:13], v[12:13], 1.0
	v_rcp_f64_e32 v[30:31], v[14:15]
	v_fma_f64 v[32:33], -v[14:15], v[30:31], 1.0
	v_fmac_f64_e32 v[30:31], v[30:31], v[32:33]
	v_fma_f64 v[32:33], -v[14:15], v[30:31], 1.0
	v_fmac_f64_e32 v[30:31], v[30:31], v[32:33]
	v_div_scale_f64 v[32:33], vcc, 1.0, v[12:13], 1.0
	v_mul_f64 v[38:39], v[32:33], v[30:31]
	v_fma_f64 v[14:15], -v[14:15], v[38:39], v[32:33]
	s_nop 1
	v_div_fmas_f64 v[14:15], v[14:15], v[30:31], v[38:39]
	v_div_fixup_f64 v[14:15], v[14:15], v[12:13], 1.0
	v_mul_f64 v[12:13], v[10:11], v[14:15]
.LBB32_204:                             ;   in Loop: Header=BB32_140 Depth=2
	s_or_b64 exec, exec, s[40:41]
                                        ; implicit-def: $vgpr10_vgpr11
                                        ; implicit-def: $vgpr52_vgpr53
.LBB32_205:                             ;   in Loop: Header=BB32_140 Depth=2
	s_andn2_saveexec_b64 s[38:39], s[38:39]
	s_cbranch_execz .LBB32_207
; %bb.206:                              ;   in Loop: Header=BB32_140 Depth=2
	v_div_scale_f64 v[12:13], vcc, v[10:11], v[10:11], -v[52:53]
	v_rcp_f64_e32 v[14:15], v[12:13]
	v_div_scale_f64 v[30:31], vcc, -v[52:53], v[10:11], -v[52:53]
	v_mov_b32_e32 v4, 0xffffff80
	v_fma_f64 v[32:33], -v[12:13], v[14:15], 1.0
	v_fmac_f64_e32 v[14:15], v[14:15], v[32:33]
	v_fma_f64 v[32:33], -v[12:13], v[14:15], 1.0
	v_fmac_f64_e32 v[14:15], v[14:15], v[32:33]
	v_mul_f64 v[32:33], v[30:31], v[14:15]
	v_fma_f64 v[12:13], -v[12:13], v[32:33], v[30:31]
	v_div_fmas_f64 v[12:13], v[12:13], v[14:15], v[32:33]
	v_div_fixup_f64 v[10:11], v[12:13], v[10:11], -v[52:53]
	v_fma_f64 v[12:13], v[10:11], v[10:11], 1.0
	v_cmp_gt_f64_e32 vcc, s[20:21], v[12:13]
	v_cndmask_b32_e64 v14, 0, 1, vcc
	v_lshlrev_b32_e32 v14, 8, v14
	v_ldexp_f64 v[12:13], v[12:13], v14
	v_rsq_f64_e32 v[14:15], v[12:13]
	v_mul_f64 v[30:31], v[12:13], v[14:15]
	v_mul_f64 v[14:15], v[14:15], 0.5
	v_fma_f64 v[32:33], -v[14:15], v[30:31], 0.5
	v_fmac_f64_e32 v[30:31], v[30:31], v[32:33]
	v_fma_f64 v[38:39], -v[30:31], v[30:31], v[12:13]
	v_fmac_f64_e32 v[14:15], v[14:15], v[32:33]
	v_fmac_f64_e32 v[30:31], v[38:39], v[14:15]
	v_fma_f64 v[32:33], -v[30:31], v[30:31], v[12:13]
	v_fmac_f64_e32 v[30:31], v[32:33], v[14:15]
	v_cndmask_b32_e32 v14, 0, v4, vcc
	v_mov_b32_e32 v4, 0x260
	v_ldexp_f64 v[14:15], v[30:31], v14
	v_cmp_class_f64_e32 vcc, v[12:13], v4
	v_cndmask_b32_e32 v13, v15, v13, vcc
	v_cndmask_b32_e32 v12, v14, v12, vcc
	v_div_scale_f64 v[14:15], vcc, v[12:13], v[12:13], 1.0
	v_rcp_f64_e32 v[30:31], v[14:15]
	v_fma_f64 v[32:33], -v[14:15], v[30:31], 1.0
	v_fmac_f64_e32 v[30:31], v[30:31], v[32:33]
	v_fma_f64 v[32:33], -v[14:15], v[30:31], 1.0
	v_fmac_f64_e32 v[30:31], v[30:31], v[32:33]
	v_div_scale_f64 v[32:33], vcc, 1.0, v[12:13], 1.0
	v_mul_f64 v[38:39], v[32:33], v[30:31]
	v_fma_f64 v[14:15], -v[14:15], v[38:39], v[32:33]
	s_nop 1
	v_div_fmas_f64 v[14:15], v[14:15], v[30:31], v[38:39]
	v_div_fixup_f64 v[12:13], v[14:15], v[12:13], 1.0
	v_mul_f64 v[14:15], v[10:11], v[12:13]
.LBB32_207:                             ;   in Loop: Header=BB32_140 Depth=2
	s_or_b64 exec, exec, s[38:39]
	v_cndmask_b32_e64 v10, 1, -1, s[12:13]
	v_xor_b32_e32 v11, 0x80000000, v13
	v_cmp_eq_u32_e32 vcc, v54, v10
	v_accvgpr_read_b32 v4, a23
	v_cndmask_b32_e32 v11, v15, v11, vcc
	v_cndmask_b32_e32 v10, v14, v12, vcc
	;; [unrolled: 1-line block ×4, first 2 shown]
	v_add_co_u32_e32 v14, vcc, v4, v26
	v_accvgpr_read_b32 v4, a22
	v_addc_co_u32_e32 v15, vcc, v4, v27, vcc
	flat_store_dwordx2 v[14:15], v[10:11]
	v_accvgpr_read_b32 v10, a32
	v_accvgpr_read_b32 v11, a33
	v_add_co_u32_e32 v10, vcc, v14, v10
	v_addc_co_u32_e32 v11, vcc, v15, v11, vcc
	flat_store_dwordx2 v[10:11], v[12:13]
	v_add_co_u32_e32 v10, vcc, -8, v60
	v_addc_co_u32_e32 v11, vcc, -1, v61, vcc
	flat_store_dwordx4 v[10:11], v[16:19]
	buffer_load_dword v12, off, s[0:3], s32 offset:112 ; 4-byte Folded Reload
	buffer_load_dword v13, off, s[0:3], s32 offset:116 ; 4-byte Folded Reload
	v_accvgpr_read_b32 v4, a28
	v_add_co_u32_e32 v10, vcc, v4, v28
	v_accvgpr_read_b32 v4, a29
	v_addc_co_u32_e32 v11, vcc, v4, v29, vcc
	v_accvgpr_read_b32 v33, a11
	v_accvgpr_read_b32 v32, a10
	s_waitcnt vmcnt(0)
	v_mov_b32_e32 v4, v12
	v_mov_b32_e32 v13, v12
	buffer_store_dword v4, off, s[0:3], s32 offset:112 ; 4-byte Folded Spill
	s_nop 0
	buffer_store_dword v5, off, s[0:3], s32 offset:116 ; 4-byte Folded Spill
	flat_store_dwordx2 v[10:11], v[12:13]
	v_add_u32_e32 v10, -2, v58
	v_accvgpr_read_b32 v4, a8
	ds_write_b32 v0, v10
	s_or_b64 exec, exec, s[36:37]
                                        ; implicit-def: $vgpr60_vgpr61
                                        ; implicit-def: $vgpr54_vgpr55
                                        ; implicit-def: $vgpr10
.LBB32_208:                             ;   in Loop: Header=BB32_140 Depth=2
	s_andn2_saveexec_b64 s[12:13], s[34:35]
	s_cbranch_execz .LBB32_210
.LBB32_209:                             ;   in Loop: Header=BB32_140 Depth=2
	flat_store_dwordx2 v[60:61], v[54:55]
	ds_write_b32 v0, v10
.LBB32_210:                             ;   in Loop: Header=BB32_140 Depth=2
	s_or_b64 exec, exec, s[12:13]
.LBB32_211:                             ;   in Loop: Header=BB32_140 Depth=2
	s_or_b64 exec, exec, s[30:31]
	s_waitcnt lgkmcnt(0)
	s_barrier
	s_waitcnt vmcnt(0)
	ds_read_b32 v58, v1
	ds_read_b32 v1, v0
	s_waitcnt lgkmcnt(0)
	v_cmp_ne_u32_e32 vcc, v58, v1
	s_and_saveexec_b64 s[30:31], vcc
	s_cbranch_execz .LBB32_139
; %bb.212:                              ;   in Loop: Header=BB32_140 Depth=2
	s_and_saveexec_b64 s[34:35], s[10:11]
	s_cbranch_execz .LBB32_138
; %bb.213:                              ;   in Loop: Header=BB32_140 Depth=2
	v_accvgpr_read_b32 v10, a10
	v_accvgpr_read_b32 v11, a11
	global_load_dword v14, v[10:11], off offset:16
	v_ashrrev_i32_e32 v59, 31, v58
	v_mul_lo_u32 v12, v58, v20
	v_lshlrev_b64 v[10:11], 3, v[58:59]
	v_accvgpr_read_b32 v1, a23
	v_ashrrev_i32_e32 v13, 31, v12
	v_add_co_u32_e32 v10, vcc, v1, v10
	v_accvgpr_read_b32 v1, a22
	v_addc_co_u32_e32 v11, vcc, v1, v11, vcc
	v_lshlrev_b64 v[12:13], 3, v[12:13]
	v_accvgpr_read_b32 v1, a7
	v_add_co_u32_e32 v1, vcc, v1, v12
	v_accvgpr_read_b32 v15, a6
	v_addc_co_u32_e32 v30, vcc, v15, v13, vcc
	v_accvgpr_read_b32 v4, a36
	v_add_co_u32_e32 v12, vcc, v4, v12
	v_accvgpr_read_b32 v4, a37
	v_addc_co_u32_e32 v13, vcc, v4, v13, vcc
	v_accvgpr_read_b32 v17, a15
	s_mov_b64 s[36:37], 0
	v_accvgpr_read_b32 v16, a14
	s_waitcnt vmcnt(0)
	ds_read_b32 v14, v14
	s_waitcnt lgkmcnt(0)
	v_sub_u32_e32 v31, v14, v58
	v_mad_i64_i32 v[14:15], s[12:13], v31, v20, 0
	v_lshlrev_b64 v[14:15], 3, v[14:15]
	v_add_co_u32_e64 v32, s[12:13], v1, v14
	v_cmp_lt_i32_e32 vcc, 0, v31
	v_addc_co_u32_e64 v33, s[12:13], v30, v15, s[12:13]
	s_branch .LBB32_215
.LBB32_214:                             ;   in Loop: Header=BB32_215 Depth=3
	s_or_b64 exec, exec, s[38:39]
	v_add_co_u32_e64 v14, s[12:13], v32, v14
	v_addc_co_u32_e64 v15, s[12:13], v33, v15, s[12:13]
	v_add_u32_e32 v16, v16, v24
	v_cmp_ge_i32_e64 s[12:13], v16, v2
	s_or_b64 s[36:37], s[12:13], s[36:37]
	v_add_co_u32_e64 v12, s[12:13], v12, v36
	v_addc_co_u32_e64 v13, s[12:13], v13, v37, s[12:13]
	s_waitcnt vmcnt(0) lgkmcnt(0)
	flat_store_dwordx2 v[14:15], v[18:19]
	s_andn2_b64 exec, exec, s[36:37]
	s_cbranch_execz .LBB32_138
.LBB32_215:                             ;   Parent Loop BB32_8 Depth=1
                                        ;     Parent Loop BB32_140 Depth=2
                                        ; =>    This Loop Header: Depth=3
                                        ;         Child Loop BB32_217 Depth 4
	v_ashrrev_i32_e32 v17, 31, v16
	v_lshlrev_b64 v[14:15], 3, v[16:17]
	v_add_co_u32_e64 v18, s[12:13], v1, v14
	v_addc_co_u32_e64 v19, s[12:13], v30, v15, s[12:13]
	flat_load_dwordx2 v[18:19], v[18:19]
	s_and_saveexec_b64 s[38:39], vcc
	s_cbranch_execz .LBB32_214
; %bb.216:                              ;   in Loop: Header=BB32_215 Depth=3
	s_mov_b64 s[40:41], 0
	v_pk_mov_b32 v[26:27], v[10:11], v[10:11] op_sel:[0,1]
	v_pk_mov_b32 v[28:29], v[12:13], v[12:13] op_sel:[0,1]
	v_mov_b32_e32 v17, v31
.LBB32_217:                             ;   Parent Loop BB32_8 Depth=1
                                        ;     Parent Loop BB32_140 Depth=2
                                        ;       Parent Loop BB32_215 Depth=3
                                        ; =>      This Inner Loop Header: Depth=4
	v_add_co_u32_e64 v22, s[12:13], v26, v3
	v_addc_co_u32_e64 v23, s[12:13], v27, v51, s[12:13]
	v_add_co_u32_e64 v38, s[12:13], v28, v48
	flat_load_dwordx2 v[22:23], v[22:23]
	v_addc_co_u32_e64 v39, s[12:13], v29, v49, s[12:13]
	flat_load_dwordx2 v[52:53], v[38:39]
	flat_load_dwordx2 v[54:55], v[26:27]
	v_add_co_u32_e64 v26, s[12:13], 8, v26
	v_add_u32_e32 v17, -1, v17
	v_addc_co_u32_e64 v27, s[12:13], 0, v27, s[12:13]
	v_cmp_eq_u32_e64 s[12:13], 0, v17
	s_or_b64 s[40:41], s[12:13], s[40:41]
	s_waitcnt vmcnt(0) lgkmcnt(0)
	v_mul_f64 v[44:45], v[22:23], v[52:53]
	v_mul_f64 v[22:23], v[18:19], v[22:23]
	v_fmac_f64_e32 v[44:45], v[18:19], v[54:55]
	v_fma_f64 v[18:19], v[54:55], v[52:53], -v[22:23]
	flat_store_dwordx2 v[28:29], v[44:45]
	v_pk_mov_b32 v[28:29], v[38:39], v[38:39] op_sel:[0,1]
	s_andn2_b64 exec, exec, s[40:41]
	s_cbranch_execnz .LBB32_217
; %bb.218:                              ;   in Loop: Header=BB32_215 Depth=3
	s_or_b64 exec, exec, s[40:41]
	s_branch .LBB32_214
.LBB32_219:                             ;   in Loop: Header=BB32_140 Depth=2
	s_or_b64 exec, exec, s[36:37]
                                        ; implicit-def: $vgpr60_vgpr61
                                        ; implicit-def: $vgpr54_vgpr55
                                        ; implicit-def: $vgpr10
	s_andn2_saveexec_b64 s[12:13], s[34:35]
	s_cbranch_execnz .LBB32_209
	s_branch .LBB32_210
.LBB32_220:                             ;   in Loop: Header=BB32_8 Depth=1
	s_or_b64 exec, exec, s[28:29]
.LBB32_221:                             ;   in Loop: Header=BB32_8 Depth=1
	s_or_b64 exec, exec, s[26:27]
.LBB32_222:                             ;   in Loop: Header=BB32_8 Depth=1
	s_or_b64 exec, exec, s[14:15]
	v_accvgpr_read_b32 v1, a43
	s_barrier
	ds_read_b64 v[12:13], v1
	v_accvgpr_read_b32 v0, a16
	v_accvgpr_read_b32 v1, a17
	s_waitcnt lgkmcnt(0)
	v_cmp_gt_f64_e32 vcc, v[12:13], v[0:1]
	s_and_saveexec_b64 s[12:13], vcc
	s_cbranch_execz .LBB32_228
; %bb.223:                              ;   in Loop: Header=BB32_8 Depth=1
	global_load_dword v10, v[32:33], off offset:16
	global_load_dword v11, v[32:33], off offset:32
	v_accvgpr_read_b32 v27, a17
	v_accvgpr_read_b32 v26, a16
	v_div_scale_f64 v[14:15], s[14:15], v[12:13], v[12:13], v[26:27]
	v_rcp_f64_e32 v[16:17], v[14:15]
	v_div_scale_f64 v[18:19], vcc, v[26:27], v[12:13], v[26:27]
	v_fma_f64 v[0:1], -v[14:15], v[16:17], 1.0
	v_fmac_f64_e32 v[16:17], v[16:17], v[0:1]
	v_fma_f64 v[0:1], -v[14:15], v[16:17], 1.0
	v_fmac_f64_e32 v[16:17], v[16:17], v[0:1]
	v_mul_f64 v[22:23], v[18:19], v[16:17]
	v_fma_f64 v[14:15], -v[14:15], v[22:23], v[18:19]
	v_div_fmas_f64 v[14:15], v[14:15], v[16:17], v[22:23]
	v_div_fixup_f64 v[12:13], v[14:15], v[12:13], v[26:27]
	s_waitcnt vmcnt(0)
	ds_read_b32 v0, v10
	ds_read_b32 v10, v11
	s_and_saveexec_b64 s[14:15], s[8:9]
	s_cbranch_execz .LBB32_225
; %bb.224:                              ;   in Loop: Header=BB32_8 Depth=1
	s_waitcnt lgkmcnt(0)
	v_ashrrev_i32_e32 v11, 31, v10
	v_lshlrev_b64 v[14:15], 3, v[10:11]
	v_add_co_u32_e32 v14, vcc, v7, v14
	v_addc_co_u32_e32 v15, vcc, v4, v15, vcc
	flat_load_dwordx2 v[16:17], v[14:15]
	s_waitcnt vmcnt(0) lgkmcnt(0)
	v_mul_f64 v[16:17], v[12:13], v[16:17]
	flat_store_dwordx2 v[14:15], v[16:17]
.LBB32_225:                             ;   in Loop: Header=BB32_8 Depth=1
	s_or_b64 exec, exec, s[14:15]
	v_accvgpr_read_b32 v14, a14
	s_waitcnt lgkmcnt(0)
	v_add_u32_e32 v14, v0, v14
	v_cmp_lt_i32_e32 vcc, v14, v10
	v_accvgpr_read_b32 v15, a15
	s_and_b64 exec, exec, vcc
	s_cbranch_execz .LBB32_228
; %bb.226:                              ;   in Loop: Header=BB32_8 Depth=1
	v_ashrrev_i32_e32 v15, 31, v14
	v_lshlrev_b64 v[16:17], 3, v[14:15]
	s_mov_b64 s[14:15], 0
.LBB32_227:                             ;   Parent Loop BB32_8 Depth=1
                                        ; =>  This Inner Loop Header: Depth=2
	v_add_co_u32_e32 v0, vcc, v7, v16
	v_addc_co_u32_e32 v1, vcc, v4, v17, vcc
	flat_load_dwordx2 v[18:19], v[0:1]
	v_add_co_u32_e32 v22, vcc, v5, v16
	v_addc_co_u32_e32 v23, vcc, v6, v17, vcc
	v_add_co_u32_e32 v16, vcc, v16, v36
	v_add_u32_e32 v14, v14, v24
	v_addc_co_u32_e32 v17, vcc, v17, v37, vcc
	v_cmp_ge_i32_e32 vcc, v14, v10
	s_or_b64 s[14:15], vcc, s[14:15]
	s_waitcnt vmcnt(0) lgkmcnt(0)
	v_mul_f64 v[18:19], v[12:13], v[18:19]
	flat_store_dwordx2 v[0:1], v[18:19]
	flat_load_dwordx2 v[0:1], v[22:23]
	s_waitcnt vmcnt(0) lgkmcnt(0)
	v_mul_f64 v[0:1], v[12:13], v[0:1]
	flat_store_dwordx2 v[22:23], v[0:1]
	s_andn2_b64 exec, exec, s[14:15]
	s_cbranch_execnz .LBB32_227
.LBB32_228:                             ;   in Loop: Header=BB32_8 Depth=1
	s_or_b64 exec, exec, s[12:13]
	v_accvgpr_read_b32 v1, a43
	ds_read_b64 v[12:13], v1
	v_accvgpr_read_b32 v0, a18
	v_accvgpr_read_b32 v1, a19
	s_waitcnt lgkmcnt(0)
	v_cmp_lt_f64_e32 vcc, v[12:13], v[0:1]
	s_and_saveexec_b64 s[12:13], vcc
	s_cbranch_execz .LBB32_6
; %bb.229:                              ;   in Loop: Header=BB32_8 Depth=1
	global_load_dword v10, v[32:33], off offset:16
	global_load_dword v11, v[32:33], off offset:32
	v_accvgpr_read_b32 v27, a19
	v_accvgpr_read_b32 v26, a18
	v_div_scale_f64 v[14:15], s[14:15], v[12:13], v[12:13], v[26:27]
	v_rcp_f64_e32 v[16:17], v[14:15]
	v_div_scale_f64 v[18:19], vcc, v[26:27], v[12:13], v[26:27]
	v_fma_f64 v[0:1], -v[14:15], v[16:17], 1.0
	v_fmac_f64_e32 v[16:17], v[16:17], v[0:1]
	v_fma_f64 v[0:1], -v[14:15], v[16:17], 1.0
	v_fmac_f64_e32 v[16:17], v[16:17], v[0:1]
	v_mul_f64 v[22:23], v[18:19], v[16:17]
	v_fma_f64 v[14:15], -v[14:15], v[22:23], v[18:19]
	v_div_fmas_f64 v[14:15], v[14:15], v[16:17], v[22:23]
	v_div_fixup_f64 v[12:13], v[14:15], v[12:13], v[26:27]
	s_waitcnt vmcnt(0)
	ds_read_b32 v0, v10
	ds_read_b32 v10, v11
	s_and_saveexec_b64 s[14:15], s[8:9]
	s_cbranch_execz .LBB32_231
; %bb.230:                              ;   in Loop: Header=BB32_8 Depth=1
	s_waitcnt lgkmcnt(0)
	v_ashrrev_i32_e32 v11, 31, v10
	v_lshlrev_b64 v[14:15], 3, v[10:11]
	v_add_co_u32_e32 v14, vcc, v7, v14
	v_addc_co_u32_e32 v15, vcc, v4, v15, vcc
	flat_load_dwordx2 v[16:17], v[14:15]
	s_waitcnt vmcnt(0) lgkmcnt(0)
	v_mul_f64 v[16:17], v[12:13], v[16:17]
	flat_store_dwordx2 v[14:15], v[16:17]
.LBB32_231:                             ;   in Loop: Header=BB32_8 Depth=1
	s_or_b64 exec, exec, s[14:15]
	v_accvgpr_read_b32 v14, a14
	s_waitcnt lgkmcnt(0)
	v_add_u32_e32 v14, v0, v14
	v_cmp_lt_i32_e32 vcc, v14, v10
	v_accvgpr_read_b32 v15, a15
	s_and_b64 exec, exec, vcc
	s_cbranch_execz .LBB32_6
; %bb.232:                              ;   in Loop: Header=BB32_8 Depth=1
	v_ashrrev_i32_e32 v15, 31, v14
	v_lshlrev_b64 v[16:17], 3, v[14:15]
	s_mov_b64 s[14:15], 0
.LBB32_233:                             ;   Parent Loop BB32_8 Depth=1
                                        ; =>  This Inner Loop Header: Depth=2
	v_add_co_u32_e32 v0, vcc, v7, v16
	v_addc_co_u32_e32 v1, vcc, v4, v17, vcc
	flat_load_dwordx2 v[18:19], v[0:1]
	v_add_co_u32_e32 v22, vcc, v5, v16
	v_addc_co_u32_e32 v23, vcc, v6, v17, vcc
	v_add_co_u32_e32 v16, vcc, v16, v36
	v_add_u32_e32 v14, v14, v24
	v_addc_co_u32_e32 v17, vcc, v17, v37, vcc
	v_cmp_ge_i32_e32 vcc, v14, v10
	s_or_b64 s[14:15], vcc, s[14:15]
	s_waitcnt vmcnt(0) lgkmcnt(0)
	v_mul_f64 v[18:19], v[12:13], v[18:19]
	flat_store_dwordx2 v[0:1], v[18:19]
	flat_load_dwordx2 v[0:1], v[22:23]
	s_waitcnt vmcnt(0) lgkmcnt(0)
	v_mul_f64 v[0:1], v[12:13], v[0:1]
	flat_store_dwordx2 v[22:23], v[0:1]
	s_andn2_b64 exec, exec, s[14:15]
	s_cbranch_execnz .LBB32_233
	s_branch .LBB32_6
.LBB32_234:
	s_or_b64 exec, exec, s[16:17]
	v_accvgpr_read_b32 v0, a14
	v_accvgpr_read_b32 v8, a24
	;; [unrolled: 1-line block ×3, first 2 shown]
	v_cmp_gt_i32_e32 vcc, v8, v0
	s_mov_b64 s[8:9], exec
	v_accvgpr_read_b32 v15, a13
	s_and_b64 s[10:11], s[8:9], vcc
	v_accvgpr_read_b32 v14, a12
	s_mov_b64 exec, s[10:11]
	s_cbranch_execz .LBB32_239
; %bb.235:
	v_accvgpr_read_b32 v0, a14
	v_accvgpr_read_b32 v1, a15
	v_lshlrev_b64 v[0:1], 3, v[0:1]
	v_add_co_u32_e32 v10, vcc, v5, v0
	v_addc_co_u32_e32 v11, vcc, v6, v1, vcc
	v_lshlrev_b64 v[12:13], 3, v[24:25]
	s_mov_b64 s[10:11], 0
	v_mov_b32_e32 v0, 1
	s_branch .LBB32_237
.LBB32_236:                             ;   in Loop: Header=BB32_237 Depth=1
	s_or_b64 exec, exec, s[12:13]
	v_accvgpr_read_b32 v6, a14
	v_add_u32_e32 v6, v6, v24
	v_accvgpr_read_b32 v8, a24
	v_cmp_ge_i32_e32 vcc, v6, v8
	s_or_b64 s[10:11], vcc, s[10:11]
	v_add_co_u32_e32 v10, vcc, v10, v12
	v_accvgpr_write_b32 a14, v6
	v_addc_co_u32_e32 v11, vcc, v11, v13, vcc
	s_andn2_b64 exec, exec, s[10:11]
	s_cbranch_execz .LBB32_239
.LBB32_237:                             ; =>This Inner Loop Header: Depth=1
	flat_load_dwordx2 v[8:9], v[10:11]
	s_waitcnt vmcnt(0) lgkmcnt(0)
	v_cmp_neq_f64_e32 vcc, 0, v[8:9]
	s_and_saveexec_b64 s[12:13], vcc
	s_cbranch_execz .LBB32_236
; %bb.238:                              ;   in Loop: Header=BB32_237 Depth=1
	flat_atomic_add v[14:15], v0
	s_branch .LBB32_236
.LBB32_239:
	s_or_b64 exec, exec, s[8:9]
	v_cmp_lt_i32_e32 vcc, 1, v2
	s_mov_b32 s18, 1
	s_and_b64 s[8:9], vcc, s[6:7]
	s_and_saveexec_b64 s[6:7], s[8:9]
	s_cbranch_execz .LBB32_255
; %bb.240:
	v_add_co_u32_e32 v0, vcc, 8, v7
	v_addc_co_u32_e32 v1, vcc, 0, v4, vcc
	s_mov_b64 s[8:9], 0
	s_branch .LBB32_242
.LBB32_241:                             ;   in Loop: Header=BB32_242 Depth=1
	s_or_b64 exec, exec, s[10:11]
	s_add_i32 s18, s18, 1
	v_cmp_eq_u32_e32 vcc, s18, v2
	s_or_b64 s[8:9], vcc, s[8:9]
	v_add_co_u32_e32 v0, vcc, 8, v0
	v_addc_co_u32_e32 v1, vcc, 0, v1, vcc
	s_waitcnt lgkmcnt(0)
	s_barrier
	s_andn2_b64 exec, exec, s[8:9]
	s_cbranch_execz .LBB32_255
.LBB32_242:                             ; =>This Loop Header: Depth=1
                                        ;     Child Loop BB32_247 Depth 2
                                        ;     Child Loop BB32_254 Depth 2
                                        ; implicit-def: $vgpr11
	s_and_saveexec_b64 s[10:11], s[4:5]
	s_xor_b64 s[10:11], exec, s[10:11]
	s_cbranch_execz .LBB32_244
; %bb.243:                              ;   in Loop: Header=BB32_242 Depth=1
	global_load_dwordx2 v[10:11], v[32:33], off
.LBB32_244:                             ;   in Loop: Header=BB32_242 Depth=1
	s_andn2_saveexec_b64 s[10:11], s[10:11]
	s_cbranch_execz .LBB32_252
; %bb.245:                              ;   in Loop: Header=BB32_242 Depth=1
	s_add_i32 s12, s18, -1
	s_ashr_i32 s13, s12, 31
	s_lshl_b64 s[14:15], s[12:13], 3
	v_mov_b32_e32 v3, s15
	v_add_co_u32_e32 v14, vcc, s14, v7
	v_addc_co_u32_e32 v15, vcc, v4, v3, vcc
	global_load_dwordx3 v[10:12], v[32:33], off
	flat_load_dwordx2 v[24:25], v[14:15]
	s_mov_b64 s[14:15], 0
	v_pk_mov_b32 v[18:19], v[0:1], v[0:1] op_sel:[0,1]
	v_mov_b32_e32 v16, s12
	s_mov_b32 s13, s18
	s_waitcnt vmcnt(0)
	ds_write_b32 v10, v16
	ds_write_b32 v11, v16
	s_waitcnt lgkmcnt(0)
	ds_write_b64 v12, v[24:25]
	s_branch .LBB32_247
.LBB32_246:                             ;   in Loop: Header=BB32_247 Depth=2
	s_or_b64 exec, exec, s[16:17]
	s_add_i32 s13, s13, 1
	v_cmp_ge_i32_e32 vcc, s13, v2
	s_or_b64 s[14:15], vcc, s[14:15]
	v_add_co_u32_e32 v18, vcc, 8, v18
	v_addc_co_u32_e32 v19, vcc, 0, v19, vcc
	s_andn2_b64 exec, exec, s[14:15]
	s_cbranch_execz .LBB32_249
.LBB32_247:                             ;   Parent Loop BB32_242 Depth=1
                                        ; =>  This Inner Loop Header: Depth=2
	flat_load_dwordx2 v[26:27], v[18:19]
	s_waitcnt vmcnt(0) lgkmcnt(0)
	v_cmp_lt_f64_e32 vcc, v[26:27], v[24:25]
	s_and_saveexec_b64 s[16:17], vcc
	s_cbranch_execz .LBB32_246
; %bb.248:                              ;   in Loop: Header=BB32_247 Depth=2
	v_mov_b32_e32 v16, s13
	v_pk_mov_b32 v[24:25], v[26:27], v[26:27] op_sel:[0,1]
	ds_write_b32 v11, v16
	ds_write_b64 v12, v[26:27]
	s_branch .LBB32_246
.LBB32_249:                             ;   in Loop: Header=BB32_242 Depth=1
	s_or_b64 exec, exec, s[14:15]
	v_cmp_ne_u32_e32 vcc, s12, v16
	s_and_saveexec_b64 s[12:13], vcc
	s_cbranch_execz .LBB32_251
; %bb.250:                              ;   in Loop: Header=BB32_242 Depth=1
	flat_load_dwordx2 v[8:9], v[14:15]
	v_ashrrev_i32_e32 v17, 31, v16
	v_lshlrev_b64 v[16:17], 3, v[16:17]
	v_add_co_u32_e32 v16, vcc, v7, v16
	v_addc_co_u32_e32 v17, vcc, v4, v17, vcc
	s_waitcnt vmcnt(0) lgkmcnt(0)
	flat_store_dwordx2 v[16:17], v[8:9]
	ds_read_b64 v[8:9], v12
	s_waitcnt lgkmcnt(0)
	flat_store_dwordx2 v[14:15], v[8:9]
.LBB32_251:                             ;   in Loop: Header=BB32_242 Depth=1
	s_or_b64 exec, exec, s[12:13]
.LBB32_252:                             ;   in Loop: Header=BB32_242 Depth=1
	s_or_b64 exec, exec, s[10:11]
	s_waitcnt lgkmcnt(0)
	s_barrier
	s_waitcnt vmcnt(0)
	ds_read_b32 v3, v11
	ds_read_b32 v5, v10
	s_waitcnt lgkmcnt(0)
	v_cmp_ne_u32_e32 vcc, v3, v5
	s_and_saveexec_b64 s[10:11], vcc
	s_cbranch_execz .LBB32_241
; %bb.253:                              ;   in Loop: Header=BB32_242 Depth=1
	v_mul_lo_u32 v10, v3, v20
	v_ashrrev_i32_e32 v11, 31, v10
	v_mul_lo_u32 v8, v5, v20
	v_lshlrev_b64 v[10:11], 3, v[10:11]
	v_accvgpr_read_b32 v6, a7
	v_add_co_u32_e32 v10, vcc, v6, v10
	v_accvgpr_read_b32 v3, a6
	v_ashrrev_i32_e32 v9, 31, v8
	v_addc_co_u32_e32 v11, vcc, v3, v11, vcc
	v_lshlrev_b64 v[8:9], 3, v[8:9]
	v_add_co_u32_e32 v12, vcc, v6, v8
	v_addc_co_u32_e32 v13, vcc, v3, v9, vcc
	s_mov_b64 s[12:13], 0
	v_mov_b32_e32 v3, v2
.LBB32_254:                             ;   Parent Loop BB32_242 Depth=1
                                        ; =>  This Inner Loop Header: Depth=2
	flat_load_dwordx2 v[8:9], v[10:11]
	flat_load_dwordx2 v[14:15], v[12:13]
	v_add_u32_e32 v3, -1, v3
	v_cmp_eq_u32_e32 vcc, 0, v3
	s_or_b64 s[12:13], vcc, s[12:13]
	s_waitcnt vmcnt(0) lgkmcnt(0)
	flat_store_dwordx2 v[12:13], v[8:9]
	flat_store_dwordx2 v[10:11], v[14:15]
	v_add_co_u32_e32 v10, vcc, 8, v10
	v_addc_co_u32_e32 v11, vcc, 0, v11, vcc
	v_add_co_u32_e32 v12, vcc, 8, v12
	v_addc_co_u32_e32 v13, vcc, 0, v13, vcc
	s_andn2_b64 exec, exec, s[12:13]
	s_cbranch_execnz .LBB32_254
	s_branch .LBB32_241
.LBB32_255:
	s_or_b64 exec, exec, s[6:7]
	buffer_load_dword a45, off, s[0:3], s32 ; 4-byte Folded Reload
	buffer_load_dword a44, off, s[0:3], s32 offset:4 ; 4-byte Folded Reload
	buffer_load_dword a43, off, s[0:3], s32 offset:8 ; 4-byte Folded Reload
	;; [unrolled: 1-line block ×27, first 2 shown]
	v_readlane_b32 s30, v63, 17
	v_readlane_b32 s31, v63, 18
	;; [unrolled: 1-line block ×19, first 2 shown]
	s_or_saveexec_b64 s[4:5], -1
	buffer_load_dword v63, off, s[0:3], s32 offset:120 ; 4-byte Folded Reload
	s_mov_b64 exec, s[4:5]
	s_waitcnt vmcnt(0) lgkmcnt(0)
	s_setpc_b64 s[30:31]
.Lfunc_end32:
	.size	_ZN9rocsolver6v331009run_steqrIddEEviiiPT0_S3_PT_iPiS3_iS2_S2_S2_b, .Lfunc_end32-_ZN9rocsolver6v331009run_steqrIddEEviiiPT0_S3_PT_iPiS3_iS2_S2_S2_b
                                        ; -- End function
	.section	.AMDGPU.csdata,"",@progbits
; Function info:
; codeLenInByte = 18056
; NumSgprs: 55
; NumVgprs: 64
; NumAgprs: 46
; TotalNumVgprs: 110
; ScratchSize: 128
; MemoryBound: 0
	.section	.text._ZN9rocsolver6v33100L12steqr_kernelIddPdEEviPT0_lS4_lT1_iilPiS4_iS3_S3_S3_,"axG",@progbits,_ZN9rocsolver6v33100L12steqr_kernelIddPdEEviPT0_lS4_lT1_iilPiS4_iS3_S3_S3_,comdat
	.globl	_ZN9rocsolver6v33100L12steqr_kernelIddPdEEviPT0_lS4_lT1_iilPiS4_iS3_S3_S3_ ; -- Begin function _ZN9rocsolver6v33100L12steqr_kernelIddPdEEviPT0_lS4_lT1_iilPiS4_iS3_S3_S3_
	.p2align	8
	.type	_ZN9rocsolver6v33100L12steqr_kernelIddPdEEviPT0_lS4_lT1_iilPiS4_iS3_S3_S3_,@function
_ZN9rocsolver6v33100L12steqr_kernelIddPdEEviPT0_lS4_lT1_iilPiS4_iS3_S3_S3_: ; @_ZN9rocsolver6v33100L12steqr_kernelIddPdEEviPT0_lS4_lT1_iilPiS4_iS3_S3_S3_
; %bb.0:
	s_add_u32 flat_scratch_lo, s6, s10
	s_addc_u32 flat_scratch_hi, s7, 0
	s_add_u32 s0, s0, s10
	s_mov_b32 s6, s9
	s_load_dword s33, s[4:5], 0x0
	s_load_dwordx8 s[24:31], s[4:5], 0x8
	s_load_dwordx8 s[16:23], s[4:5], 0x28
	s_load_dword s7, s[4:5], 0x70
	s_load_dword s9, s[4:5], 0x7c
	s_load_dwordx2 s[10:11], s[4:5], 0x48
	s_load_dword s34, s[4:5], 0x50
	s_load_dwordx4 s[36:39], s[4:5], 0x58
	s_load_dwordx2 s[12:13], s[4:5], 0x68
	s_addc_u32 s1, s1, 0
	s_waitcnt lgkmcnt(0)
	s_and_b32 s9, s9, 0xffff
	s_mul_i32 s8, s8, s9
	v_add_u32_e32 v0, s8, v0
	s_mul_i32 s35, s7, s9
	s_ashr_i32 s7, s6, 31
	s_mul_i32 s8, s6, s27
	s_mul_hi_u32 s9, s6, s26
	s_add_i32 s8, s9, s8
	s_mul_i32 s9, s7, s26
	s_add_i32 s9, s8, s9
	s_mul_i32 s8, s6, s26
	s_lshl_b32 s40, s33, 1
	s_lshl_b64 s[8:9], s[8:9], 3
	s_add_u32 s24, s24, s8
	s_addc_u32 s25, s25, s9
	s_mul_i32 s8, s6, s31
	s_mul_hi_u32 s9, s6, s30
	s_add_i32 s8, s9, s8
	s_mul_i32 s9, s7, s30
	s_add_i32 s9, s8, s9
	s_mul_i32 s8, s6, s30
	s_lshl_b64 s[8:9], s[8:9], 3
	s_add_u32 s26, s28, s8
	s_mul_i32 s14, s6, s21
	s_mul_hi_u32 s15, s6, s20
	s_addc_u32 s27, s29, s9
	s_add_i32 s14, s15, s14
	s_mul_i32 s15, s7, s20
	s_add_i32 s15, s14, s15
	s_mul_i32 s14, s6, s20
	s_ashr_i32 s9, s18, 31
	s_lshl_b64 s[14:15], s[14:15], 3
	s_mov_b32 s8, s18
	s_add_u32 s14, s16, s14
	s_addc_u32 s15, s17, s15
	s_lshl_b64 s[8:9], s[8:9], 3
	s_add_u32 s14, s14, s8
	s_addc_u32 s16, s15, s9
	s_mul_hi_i32 s9, s40, s6
	s_mul_i32 s8, s40, s6
	s_lshl_b64 s[8:9], s[8:9], 3
	s_add_u32 s10, s10, s8
	s_addc_u32 s11, s11, s9
	s_lshl_b64 s[6:7], s[6:7], 2
	s_add_u32 s6, s22, s6
	s_addc_u32 s7, s23, s7
	s_add_u32 s8, s4, 0x70
	s_addc_u32 s9, s5, 0
	s_mov_b32 s15, 0
	v_mov_b32_e32 v1, s35
	v_mov_b32_e32 v2, s33
	;; [unrolled: 1-line block ×21, first 2 shown]
	s_mov_b32 s32, 0
	s_getpc_b64 s[4:5]
	s_add_u32 s4, s4, _ZN9rocsolver6v331009run_steqrIddEEviiiPT0_S3_PT_iPiS3_iS2_S2_S2_b@rel32@lo+4
	s_addc_u32 s5, s5, _ZN9rocsolver6v331009run_steqrIddEEviiiPT0_S3_PT_iPiS3_iS2_S2_S2_b@rel32@hi+12
	s_swappc_b64 s[30:31], s[4:5]
	s_endpgm
	.section	.rodata,"a",@progbits
	.p2align	6, 0x0
	.amdhsa_kernel _ZN9rocsolver6v33100L12steqr_kernelIddPdEEviPT0_lS4_lT1_iilPiS4_iS3_S3_S3_
		.amdhsa_group_segment_fixed_size 48
		.amdhsa_private_segment_fixed_size 128
		.amdhsa_kernarg_size 368
		.amdhsa_user_sgpr_count 8
		.amdhsa_user_sgpr_private_segment_buffer 1
		.amdhsa_user_sgpr_dispatch_ptr 0
		.amdhsa_user_sgpr_queue_ptr 0
		.amdhsa_user_sgpr_kernarg_segment_ptr 1
		.amdhsa_user_sgpr_dispatch_id 0
		.amdhsa_user_sgpr_flat_scratch_init 1
		.amdhsa_user_sgpr_kernarg_preload_length 0
		.amdhsa_user_sgpr_kernarg_preload_offset 0
		.amdhsa_user_sgpr_private_segment_size 0
		.amdhsa_uses_dynamic_stack 0
		.amdhsa_system_sgpr_private_segment_wavefront_offset 1
		.amdhsa_system_sgpr_workgroup_id_x 1
		.amdhsa_system_sgpr_workgroup_id_y 1
		.amdhsa_system_sgpr_workgroup_id_z 0
		.amdhsa_system_sgpr_workgroup_info 0
		.amdhsa_system_vgpr_workitem_id 0
		.amdhsa_next_free_vgpr 110
		.amdhsa_next_free_sgpr 51
		.amdhsa_accum_offset 64
		.amdhsa_reserve_vcc 1
		.amdhsa_reserve_flat_scratch 1
		.amdhsa_float_round_mode_32 0
		.amdhsa_float_round_mode_16_64 0
		.amdhsa_float_denorm_mode_32 3
		.amdhsa_float_denorm_mode_16_64 3
		.amdhsa_dx10_clamp 1
		.amdhsa_ieee_mode 1
		.amdhsa_fp16_overflow 0
		.amdhsa_tg_split 0
		.amdhsa_exception_fp_ieee_invalid_op 0
		.amdhsa_exception_fp_denorm_src 0
		.amdhsa_exception_fp_ieee_div_zero 0
		.amdhsa_exception_fp_ieee_overflow 0
		.amdhsa_exception_fp_ieee_underflow 0
		.amdhsa_exception_fp_ieee_inexact 0
		.amdhsa_exception_int_div_zero 0
	.end_amdhsa_kernel
	.section	.text._ZN9rocsolver6v33100L12steqr_kernelIddPdEEviPT0_lS4_lT1_iilPiS4_iS3_S3_S3_,"axG",@progbits,_ZN9rocsolver6v33100L12steqr_kernelIddPdEEviPT0_lS4_lT1_iilPiS4_iS3_S3_S3_,comdat
.Lfunc_end33:
	.size	_ZN9rocsolver6v33100L12steqr_kernelIddPdEEviPT0_lS4_lT1_iilPiS4_iS3_S3_S3_, .Lfunc_end33-_ZN9rocsolver6v33100L12steqr_kernelIddPdEEviPT0_lS4_lT1_iilPiS4_iS3_S3_S3_
                                        ; -- End function
	.section	.AMDGPU.csdata,"",@progbits
; Kernel info:
; codeLenInByte = 416
; NumSgprs: 57
; NumVgprs: 64
; NumAgprs: 46
; TotalNumVgprs: 110
; ScratchSize: 128
; MemoryBound: 0
; FloatMode: 240
; IeeeMode: 1
; LDSByteSize: 48 bytes/workgroup (compile time only)
; SGPRBlocks: 7
; VGPRBlocks: 13
; NumSGPRsForWavesPerEU: 57
; NumVGPRsForWavesPerEU: 110
; AccumOffset: 64
; Occupancy: 4
; WaveLimiterHint : 0
; COMPUTE_PGM_RSRC2:SCRATCH_EN: 1
; COMPUTE_PGM_RSRC2:USER_SGPR: 8
; COMPUTE_PGM_RSRC2:TRAP_HANDLER: 0
; COMPUTE_PGM_RSRC2:TGID_X_EN: 1
; COMPUTE_PGM_RSRC2:TGID_Y_EN: 1
; COMPUTE_PGM_RSRC2:TGID_Z_EN: 0
; COMPUTE_PGM_RSRC2:TIDIG_COMP_CNT: 0
; COMPUTE_PGM_RSRC3_GFX90A:ACCUM_OFFSET: 15
; COMPUTE_PGM_RSRC3_GFX90A:TG_SPLIT: 0
	.section	.text._ZN9rocsolver6v33100L10init_identIdPdEEviiT0_iil,"axG",@progbits,_ZN9rocsolver6v33100L10init_identIdPdEEviiT0_iil,comdat
	.globl	_ZN9rocsolver6v33100L10init_identIdPdEEviiT0_iil ; -- Begin function _ZN9rocsolver6v33100L10init_identIdPdEEviiT0_iil
	.p2align	8
	.type	_ZN9rocsolver6v33100L10init_identIdPdEEviiT0_iil,@function
_ZN9rocsolver6v33100L10init_identIdPdEEviiT0_iil: ; @_ZN9rocsolver6v33100L10init_identIdPdEEviiT0_iil
; %bb.0:
	s_load_dword s2, s[4:5], 0x2c
	s_load_dwordx2 s[0:1], s[4:5], 0x0
	v_and_b32_e32 v1, 0x3ff, v0
	v_bfe_u32 v0, v0, 10, 10
	s_waitcnt lgkmcnt(0)
	s_lshr_b32 s3, s2, 16
	s_and_b32 s2, s2, 0xffff
	s_mul_i32 s6, s6, s2
	s_mul_i32 s7, s7, s3
	v_add_u32_e32 v2, s6, v1
	v_add_u32_e32 v1, s7, v0
	v_cmp_gt_u32_e32 vcc, s0, v2
	v_cmp_gt_u32_e64 s[0:1], s1, v1
	s_and_b64 s[0:1], vcc, s[0:1]
	s_and_saveexec_b64 s[2:3], s[0:1]
	s_cbranch_execz .LBB34_6
; %bb.1:
	s_load_dwordx2 s[0:1], s[4:5], 0x10
	v_cmp_ne_u32_e32 vcc, v2, v1
                                        ; implicit-def: $sgpr2_sgpr3
                                        ; implicit-def: $vgpr0
	s_and_saveexec_b64 s[6:7], vcc
	s_xor_b64 s[6:7], exec, s[6:7]
	s_cbranch_execz .LBB34_3
; %bb.2:
	s_waitcnt lgkmcnt(0)
	v_mad_u64_u32 v[0:1], s[2:3], v1, s1, v[2:3]
	s_mov_b64 s[2:3], 0
                                        ; implicit-def: $vgpr2
.LBB34_3:
	s_or_saveexec_b64 s[6:7], s[6:7]
	v_pk_mov_b32 v[4:5], s[2:3], s[2:3] op_sel:[0,1]
	s_xor_b64 exec, exec, s[6:7]
	s_cbranch_execz .LBB34_5
; %bb.4:
	v_mov_b32_e32 v4, 0
	s_waitcnt lgkmcnt(0)
	v_mad_u64_u32 v[0:1], s[2:3], v2, s1, v[2:3]
	v_mov_b32_e32 v5, 0x3ff00000
.LBB34_5:
	s_or_b64 exec, exec, s[6:7]
	s_load_dwordx2 s[2:3], s[4:5], 0x18
	s_load_dwordx2 s[6:7], s[4:5], 0x8
	s_waitcnt lgkmcnt(0)
	s_ashr_i32 s1, s0, 31
	v_mov_b32_e32 v1, 0
	v_lshlrev_b64 v[0:1], 3, v[0:1]
	s_mul_i32 s3, s8, s3
	s_mul_hi_u32 s4, s8, s2
	s_mul_i32 s2, s8, s2
	s_add_i32 s3, s4, s3
	s_lshl_b64 s[2:3], s[2:3], 3
	s_add_u32 s2, s6, s2
	s_addc_u32 s3, s7, s3
	s_lshl_b64 s[0:1], s[0:1], 3
	s_add_u32 s0, s2, s0
	s_addc_u32 s1, s3, s1
	v_mov_b32_e32 v2, s1
	v_add_co_u32_e32 v0, vcc, s0, v0
	v_addc_co_u32_e32 v1, vcc, v2, v1, vcc
	global_store_dwordx2 v[0:1], v[4:5], off
.LBB34_6:
	s_endpgm
	.section	.rodata,"a",@progbits
	.p2align	6, 0x0
	.amdhsa_kernel _ZN9rocsolver6v33100L10init_identIdPdEEviiT0_iil
		.amdhsa_group_segment_fixed_size 0
		.amdhsa_private_segment_fixed_size 0
		.amdhsa_kernarg_size 288
		.amdhsa_user_sgpr_count 6
		.amdhsa_user_sgpr_private_segment_buffer 1
		.amdhsa_user_sgpr_dispatch_ptr 0
		.amdhsa_user_sgpr_queue_ptr 0
		.amdhsa_user_sgpr_kernarg_segment_ptr 1
		.amdhsa_user_sgpr_dispatch_id 0
		.amdhsa_user_sgpr_flat_scratch_init 0
		.amdhsa_user_sgpr_kernarg_preload_length 0
		.amdhsa_user_sgpr_kernarg_preload_offset 0
		.amdhsa_user_sgpr_private_segment_size 0
		.amdhsa_uses_dynamic_stack 0
		.amdhsa_system_sgpr_private_segment_wavefront_offset 0
		.amdhsa_system_sgpr_workgroup_id_x 1
		.amdhsa_system_sgpr_workgroup_id_y 1
		.amdhsa_system_sgpr_workgroup_id_z 1
		.amdhsa_system_sgpr_workgroup_info 0
		.amdhsa_system_vgpr_workitem_id 1
		.amdhsa_next_free_vgpr 6
		.amdhsa_next_free_sgpr 9
		.amdhsa_accum_offset 8
		.amdhsa_reserve_vcc 1
		.amdhsa_reserve_flat_scratch 0
		.amdhsa_float_round_mode_32 0
		.amdhsa_float_round_mode_16_64 0
		.amdhsa_float_denorm_mode_32 3
		.amdhsa_float_denorm_mode_16_64 3
		.amdhsa_dx10_clamp 1
		.amdhsa_ieee_mode 1
		.amdhsa_fp16_overflow 0
		.amdhsa_tg_split 0
		.amdhsa_exception_fp_ieee_invalid_op 0
		.amdhsa_exception_fp_denorm_src 0
		.amdhsa_exception_fp_ieee_div_zero 0
		.amdhsa_exception_fp_ieee_overflow 0
		.amdhsa_exception_fp_ieee_underflow 0
		.amdhsa_exception_fp_ieee_inexact 0
		.amdhsa_exception_int_div_zero 0
	.end_amdhsa_kernel
	.section	.text._ZN9rocsolver6v33100L10init_identIdPdEEviiT0_iil,"axG",@progbits,_ZN9rocsolver6v33100L10init_identIdPdEEviiT0_iil,comdat
.Lfunc_end34:
	.size	_ZN9rocsolver6v33100L10init_identIdPdEEviiT0_iil, .Lfunc_end34-_ZN9rocsolver6v33100L10init_identIdPdEEviiT0_iil
                                        ; -- End function
	.section	.AMDGPU.csdata,"",@progbits
; Kernel info:
; codeLenInByte = 276
; NumSgprs: 13
; NumVgprs: 6
; NumAgprs: 0
; TotalNumVgprs: 6
; ScratchSize: 0
; MemoryBound: 0
; FloatMode: 240
; IeeeMode: 1
; LDSByteSize: 0 bytes/workgroup (compile time only)
; SGPRBlocks: 1
; VGPRBlocks: 0
; NumSGPRsForWavesPerEU: 13
; NumVGPRsForWavesPerEU: 6
; AccumOffset: 8
; Occupancy: 8
; WaveLimiterHint : 0
; COMPUTE_PGM_RSRC2:SCRATCH_EN: 0
; COMPUTE_PGM_RSRC2:USER_SGPR: 6
; COMPUTE_PGM_RSRC2:TRAP_HANDLER: 0
; COMPUTE_PGM_RSRC2:TGID_X_EN: 1
; COMPUTE_PGM_RSRC2:TGID_Y_EN: 1
; COMPUTE_PGM_RSRC2:TGID_Z_EN: 1
; COMPUTE_PGM_RSRC2:TIDIG_COMP_CNT: 1
; COMPUTE_PGM_RSRC3_GFX90A:ACCUM_OFFSET: 1
; COMPUTE_PGM_RSRC3_GFX90A:TG_SPLIT: 0
	.section	.text._ZN9rocsolver6v33100L19stedc_divide_kernelIdEEviiiPT_lS3_liPi,"axG",@progbits,_ZN9rocsolver6v33100L19stedc_divide_kernelIdEEviiiPT_lS3_liPi,comdat
	.globl	_ZN9rocsolver6v33100L19stedc_divide_kernelIdEEviiiPT_lS3_liPi ; -- Begin function _ZN9rocsolver6v33100L19stedc_divide_kernelIdEEviiiPT_lS3_liPi
	.p2align	8
	.type	_ZN9rocsolver6v33100L19stedc_divide_kernelIdEEviiiPT_lS3_liPi,@function
_ZN9rocsolver6v33100L19stedc_divide_kernelIdEEviiiPT_lS3_liPi: ; @_ZN9rocsolver6v33100L19stedc_divide_kernelIdEEviiiPT_lS3_liPi
; %bb.0:
	s_load_dword s0, s[4:5], 0x4c
	s_load_dword s1, s[4:5], 0x30
	s_waitcnt lgkmcnt(0)
	s_and_b32 s0, s0, 0xffff
	s_mul_i32 s6, s6, s0
	v_add_u32_e32 v4, s6, v0
	v_cmp_gt_i32_e32 vcc, s1, v4
	s_and_saveexec_b64 s[0:1], vcc
	s_cbranch_execz .LBB35_10
; %bb.1:
	s_load_dwordx4 s[8:11], s[4:5], 0x0
	s_load_dwordx2 s[2:3], s[4:5], 0x38
	s_waitcnt lgkmcnt(0)
	s_mul_i32 s0, s10, 13
	v_mul_lo_u32 v0, s0, v4
	v_ashrrev_i32_e32 v1, 31, v0
	v_lshlrev_b64 v[2:3], 2, v[0:1]
	v_mov_b32_e32 v5, s3
	v_add_co_u32_e32 v0, vcc, s2, v2
	v_addc_co_u32_e64 v1, s[0:1], v5, v3, vcc
	v_mov_b32_e32 v2, s10
	s_cmp_lt_i32 s8, 1
	global_store_dword v[0:1], v2, off
	s_cbranch_scc1 .LBB35_7
; %bb.2:
	v_mov_b32_e32 v2, s3
	v_addc_co_u32_e32 v2, vcc, v3, v2, vcc
	v_add_co_u32_e32 v5, vcc, -4, v0
	v_addc_co_u32_e32 v6, vcc, -1, v2, vcc
	s_mov_b32 s1, 0
	s_mov_b32 s2, 0
	s_branch .LBB35_4
.LBB35_3:                               ;   in Loop: Header=BB35_4 Depth=1
	s_add_i32 s2, s2, 1
	s_cmp_eq_u32 s2, s8
	s_cbranch_scc1 .LBB35_7
.LBB35_4:                               ; =>This Loop Header: Depth=1
                                        ;     Child Loop BB35_6 Depth 2
	s_cmp_eq_u32 s2, 31
	s_cbranch_scc1 .LBB35_3
; %bb.5:                                ;   in Loop: Header=BB35_4 Depth=1
	s_lshl_b32 s0, 1, s2
	s_lshl_b64 s[6:7], s[0:1], 2
	v_mov_b32_e32 v3, s7
	v_add_co_u32_e32 v2, vcc, s6, v5
	s_add_i32 s3, s0, 1
	v_addc_co_u32_e32 v3, vcc, v6, v3, vcc
	s_lshl_b32 s0, s0, 1
.LBB35_6:                               ;   Parent Loop BB35_4 Depth=1
                                        ; =>  This Inner Loop Header: Depth=2
	global_load_dword v7, v[2:3], off
	v_add_co_u32_e32 v2, vcc, -4, v2
	s_lshl_b64 s[6:7], s[0:1], 2
	v_addc_co_u32_e32 v3, vcc, -1, v3, vcc
	s_add_i32 s3, s3, -1
	s_add_i32 s0, s0, -2
	v_mov_b32_e32 v9, s7
	v_add_co_u32_e32 v8, vcc, s6, v0
	s_cmp_lt_i32 s3, 2
	v_addc_co_u32_e32 v9, vcc, v1, v9, vcc
	s_waitcnt vmcnt(0)
	v_lshrrev_b32_e32 v10, 31, v7
	v_and_b32_e32 v11, 1, v7
	v_add_u32_e32 v7, v7, v10
	v_ashrrev_i32_e32 v10, 1, v7
	v_add_u32_e32 v11, v10, v11
	global_store_dwordx2 v[8:9], v[10:11], off offset:-8
	s_cbranch_scc0 .LBB35_6
	s_branch .LBB35_3
.LBB35_7:
	s_ashr_i32 s11, s10, 31
	s_lshl_b64 s[0:1], s[10:11], 2
	v_mov_b32_e32 v2, s1
	v_add_co_u32_e32 v6, vcc, s0, v0
	v_addc_co_u32_e32 v7, vcc, v1, v2, vcc
	v_mov_b32_e32 v2, 0
	s_cmp_lt_i32 s9, 2
	global_store_dword v[6:7], v2, off
	s_cbranch_scc1 .LBB35_10
; %bb.8:
	s_load_dwordx8 s[12:19], s[4:5], 0x10
	v_ashrrev_i32_e32 v3, 31, v4
	s_waitcnt lgkmcnt(0)
	v_mul_lo_u32 v5, v4, s15
	v_mul_lo_u32 v8, v3, s14
	v_mad_u64_u32 v[6:7], s[2:3], v4, s14, 0
	v_add3_u32 v7, v7, v5, v8
	v_lshlrev_b64 v[6:7], 3, v[6:7]
	v_mov_b32_e32 v8, s13
	v_add_co_u32_e32 v5, vcc, s12, v6
	v_addc_co_u32_e32 v6, vcc, v8, v7, vcc
	v_mul_lo_u32 v7, v4, s19
	v_mul_lo_u32 v3, v3, s18
	v_mad_u64_u32 v[8:9], s[2:3], v4, s18, 0
	v_add3_u32 v9, v9, v7, v3
	v_lshlrev_b64 v[8:9], 3, v[8:9]
	v_mov_b32_e32 v3, s17
	v_add_co_u32_e32 v4, vcc, s16, v8
	s_add_i32 s2, s9, -1
	v_addc_co_u32_e32 v3, vcc, v3, v9, vcc
	s_add_u32 s0, s0, 4
	v_add_co_u32_e32 v4, vcc, -8, v4
	s_addc_u32 s1, s1, 0
	v_addc_co_u32_e32 v7, vcc, -1, v3, vcc
	v_mov_b32_e32 v8, s1
.LBB35_9:                               ; =>This Inner Loop Header: Depth=1
	global_load_dword v3, v[0:1], off
	s_add_i32 s2, s2, -1
	s_cmp_lg_u32 s2, 0
	s_waitcnt vmcnt(0)
	v_add_u32_e32 v2, v3, v2
	v_ashrrev_i32_e32 v3, 31, v2
	v_lshlrev_b64 v[10:11], 3, v[2:3]
	v_add_co_u32_e32 v14, vcc, v4, v10
	v_addc_co_u32_e32 v15, vcc, v7, v11, vcc
	v_add_co_u32_e32 v16, vcc, v5, v10
	v_addc_co_u32_e32 v17, vcc, v6, v11, vcc
	global_load_dwordx2 v[18:19], v[14:15], off
	global_load_dwordx4 v[10:13], v[16:17], off offset:-8
	v_add_co_u32_e32 v14, vcc, s0, v0
	v_addc_co_u32_e32 v15, vcc, v1, v8, vcc
	v_add_co_u32_e32 v0, vcc, 4, v0
	v_addc_co_u32_e32 v1, vcc, 0, v1, vcc
	global_store_dword v[14:15], v2, off
	s_waitcnt vmcnt(1)
	v_add_f64 v[12:13], v[12:13], -v[18:19]
	v_add_f64 v[10:11], v[10:11], -v[18:19]
	global_store_dwordx4 v[16:17], v[10:13], off offset:-8
	s_cbranch_scc1 .LBB35_9
.LBB35_10:
	s_endpgm
	.section	.rodata,"a",@progbits
	.p2align	6, 0x0
	.amdhsa_kernel _ZN9rocsolver6v33100L19stedc_divide_kernelIdEEviiiPT_lS3_liPi
		.amdhsa_group_segment_fixed_size 0
		.amdhsa_private_segment_fixed_size 0
		.amdhsa_kernarg_size 320
		.amdhsa_user_sgpr_count 6
		.amdhsa_user_sgpr_private_segment_buffer 1
		.amdhsa_user_sgpr_dispatch_ptr 0
		.amdhsa_user_sgpr_queue_ptr 0
		.amdhsa_user_sgpr_kernarg_segment_ptr 1
		.amdhsa_user_sgpr_dispatch_id 0
		.amdhsa_user_sgpr_flat_scratch_init 0
		.amdhsa_user_sgpr_kernarg_preload_length 0
		.amdhsa_user_sgpr_kernarg_preload_offset 0
		.amdhsa_user_sgpr_private_segment_size 0
		.amdhsa_uses_dynamic_stack 0
		.amdhsa_system_sgpr_private_segment_wavefront_offset 0
		.amdhsa_system_sgpr_workgroup_id_x 1
		.amdhsa_system_sgpr_workgroup_id_y 0
		.amdhsa_system_sgpr_workgroup_id_z 0
		.amdhsa_system_sgpr_workgroup_info 0
		.amdhsa_system_vgpr_workitem_id 0
		.amdhsa_next_free_vgpr 20
		.amdhsa_next_free_sgpr 20
		.amdhsa_accum_offset 20
		.amdhsa_reserve_vcc 1
		.amdhsa_reserve_flat_scratch 0
		.amdhsa_float_round_mode_32 0
		.amdhsa_float_round_mode_16_64 0
		.amdhsa_float_denorm_mode_32 3
		.amdhsa_float_denorm_mode_16_64 3
		.amdhsa_dx10_clamp 1
		.amdhsa_ieee_mode 1
		.amdhsa_fp16_overflow 0
		.amdhsa_tg_split 0
		.amdhsa_exception_fp_ieee_invalid_op 0
		.amdhsa_exception_fp_denorm_src 0
		.amdhsa_exception_fp_ieee_div_zero 0
		.amdhsa_exception_fp_ieee_overflow 0
		.amdhsa_exception_fp_ieee_underflow 0
		.amdhsa_exception_fp_ieee_inexact 0
		.amdhsa_exception_int_div_zero 0
	.end_amdhsa_kernel
	.section	.text._ZN9rocsolver6v33100L19stedc_divide_kernelIdEEviiiPT_lS3_liPi,"axG",@progbits,_ZN9rocsolver6v33100L19stedc_divide_kernelIdEEviiiPT_lS3_liPi,comdat
.Lfunc_end35:
	.size	_ZN9rocsolver6v33100L19stedc_divide_kernelIdEEviiiPT_lS3_liPi, .Lfunc_end35-_ZN9rocsolver6v33100L19stedc_divide_kernelIdEEviiiPT_lS3_liPi
                                        ; -- End function
	.section	.AMDGPU.csdata,"",@progbits
; Kernel info:
; codeLenInByte = 600
; NumSgprs: 24
; NumVgprs: 20
; NumAgprs: 0
; TotalNumVgprs: 20
; ScratchSize: 0
; MemoryBound: 0
; FloatMode: 240
; IeeeMode: 1
; LDSByteSize: 0 bytes/workgroup (compile time only)
; SGPRBlocks: 2
; VGPRBlocks: 2
; NumSGPRsForWavesPerEU: 24
; NumVGPRsForWavesPerEU: 20
; AccumOffset: 20
; Occupancy: 8
; WaveLimiterHint : 1
; COMPUTE_PGM_RSRC2:SCRATCH_EN: 0
; COMPUTE_PGM_RSRC2:USER_SGPR: 6
; COMPUTE_PGM_RSRC2:TRAP_HANDLER: 0
; COMPUTE_PGM_RSRC2:TGID_X_EN: 1
; COMPUTE_PGM_RSRC2:TGID_Y_EN: 0
; COMPUTE_PGM_RSRC2:TGID_Z_EN: 0
; COMPUTE_PGM_RSRC2:TIDIG_COMP_CNT: 0
; COMPUTE_PGM_RSRC3_GFX90A:ACCUM_OFFSET: 4
; COMPUTE_PGM_RSRC3_GFX90A:TG_SPLIT: 0
	.section	.text._ZN9rocsolver6v33100L18stedc_solve_kernelIdEEviiPT_lS3_lS3_iilPiS3_S4_S2_S2_S2_,"axG",@progbits,_ZN9rocsolver6v33100L18stedc_solve_kernelIdEEviiPT_lS3_lS3_iilPiS3_S4_S2_S2_S2_,comdat
	.globl	_ZN9rocsolver6v33100L18stedc_solve_kernelIdEEviiPT_lS3_lS3_iilPiS3_S4_S2_S2_S2_ ; -- Begin function _ZN9rocsolver6v33100L18stedc_solve_kernelIdEEviiPT_lS3_lS3_iilPiS3_S4_S2_S2_S2_
	.p2align	8
	.type	_ZN9rocsolver6v33100L18stedc_solve_kernelIdEEviiPT_lS3_lS3_iilPiS3_S4_S2_S2_S2_,@function
_ZN9rocsolver6v33100L18stedc_solve_kernelIdEEviiPT_lS3_lS3_iilPiS3_S4_S2_S2_S2_: ; @_ZN9rocsolver6v33100L18stedc_solve_kernelIdEEviiPT_lS3_lS3_iilPiS3_S4_S2_S2_S2_
; %bb.0:
	s_add_u32 flat_scratch_lo, s6, s10
	s_addc_u32 flat_scratch_hi, s7, 0
	s_add_u32 s0, s0, s10
	s_load_dword s10, s[4:5], 0x4
	s_load_dword s7, s[4:5], 0x7c
	s_load_dwordx4 s[28:31], s[4:5], 0x28
	s_load_dwordx8 s[20:27], s[4:5], 0x8
	s_load_dwordx8 s[12:19], s[4:5], 0x38
	s_mov_b32 s6, s9
	s_addc_u32 s1, s1, 0
	s_waitcnt lgkmcnt(0)
	s_and_b32 s33, s7, 0xffff
	s_ashr_i32 s7, s9, 31
	s_mul_i32 s9, s9, s13
	s_mul_hi_u32 s13, s6, s12
	s_add_i32 s9, s13, s9
	s_mul_i32 s13, s7, s12
	s_add_i32 s13, s9, s13
	s_mul_i32 s12, s6, s12
	s_ashr_i32 s11, s10, 31
	s_ashr_i32 s35, s30, 31
	s_lshl_b64 s[12:13], s[12:13], 3
	s_mov_b32 s34, s30
	s_add_u32 s9, s28, s12
	s_addc_u32 s28, s29, s13
	s_lshl_b64 s[12:13], s[34:35], 3
	s_add_u32 s29, s9, s12
	s_mul_i32 s9, s6, s23
	s_mul_hi_u32 s12, s6, s22
	s_addc_u32 s28, s28, s13
	s_add_i32 s9, s12, s9
	s_mul_i32 s12, s7, s22
	s_add_i32 s13, s9, s12
	s_mul_i32 s12, s6, s22
	s_lshl_b64 s[12:13], s[12:13], 3
	s_add_u32 s20, s20, s12
	s_mul_i32 s9, s6, s27
	s_mul_hi_u32 s12, s6, s26
	s_addc_u32 s21, s21, s13
	s_add_i32 s9, s12, s9
	s_mul_i32 s12, s7, s26
	s_add_i32 s13, s9, s12
	s_mul_i32 s12, s6, s26
	s_lshl_b64 s[12:13], s[12:13], 3
	s_add_u32 s22, s24, s12
	s_addc_u32 s23, s25, s13
	s_lshl_b64 s[12:13], s[6:7], 2
	s_mul_i32 s9, s6, s10
	s_add_u32 s14, s14, s12
	s_mul_i32 s6, s9, 13
	s_addc_u32 s24, s15, s13
	s_ashr_i32 s7, s6, 31
	s_lshl_b64 s[6:7], s[6:7], 2
	s_add_u32 s12, s18, s6
	s_addc_u32 s13, s19, s7
	s_lshl_b64 s[6:7], s[10:11], 2
	s_lshl_b32 s10, s9, 1
	s_ashr_i32 s11, s10, 31
	s_lshl_b64 s[10:11], s[10:11], 3
	s_add_u32 s15, s16, s10
	s_addc_u32 s25, s17, s11
	s_ashr_i32 s9, s8, 31
	s_lshl_b64 s[8:9], s[8:9], 2
	s_add_u32 s8, s12, s8
	s_addc_u32 s9, s13, s9
	s_add_u32 s6, s8, s6
	s_addc_u32 s7, s9, s7
	s_load_dword s10, s[6:7], 0x0
	s_load_dword s26, s[8:9], 0x0
	s_load_dwordx2 s[12:13], s[4:5], 0x68
	s_load_dwordx4 s[16:19], s[4:5], 0x58
	v_mov_b32_e32 v1, s33
	s_waitcnt lgkmcnt(0)
	s_ashr_i32 s11, s10, 31
	s_lshl_b64 s[6:7], s[10:11], 3
	s_add_u32 s11, s20, s6
	s_addc_u32 s20, s21, s7
	s_add_u32 s21, s22, s6
	s_addc_u32 s22, s23, s7
	s_add_u32 s8, s29, s6
	s_mul_i32 s6, s10, s31
	s_addc_u32 s9, s28, s7
	s_ashr_i32 s7, s6, 31
	s_lshl_b64 s[6:7], s[6:7], 3
	s_add_u32 s23, s8, s6
	s_addc_u32 s27, s9, s7
	s_lshl_b32 s6, s10, 1
	s_ashr_i32 s7, s6, 31
	s_lshl_b64 s[6:7], s[6:7], 3
	s_add_u32 s6, s15, s6
	s_addc_u32 s7, s25, s7
	s_mul_i32 s10, s26, 30
	s_add_u32 s8, s4, 0x70
	s_addc_u32 s9, s5, 0
	s_mov_b32 s15, 1
	v_mov_b32_e32 v2, s26
	v_mov_b32_e32 v3, s11
	;; [unrolled: 1-line block ×20, first 2 shown]
	s_mov_b32 s32, 0
	s_getpc_b64 s[4:5]
	s_add_u32 s4, s4, _ZN9rocsolver6v331009run_steqrIddEEviiiPT0_S3_PT_iPiS3_iS2_S2_S2_b@rel32@lo+4
	s_addc_u32 s5, s5, _ZN9rocsolver6v331009run_steqrIddEEviiiPT0_S3_PT_iPiS3_iS2_S2_S2_b@rel32@hi+12
	s_swappc_b64 s[30:31], s[4:5]
	s_endpgm
	.section	.rodata,"a",@progbits
	.p2align	6, 0x0
	.amdhsa_kernel _ZN9rocsolver6v33100L18stedc_solve_kernelIdEEviiPT_lS3_lS3_iilPiS3_S4_S2_S2_S2_
		.amdhsa_group_segment_fixed_size 48
		.amdhsa_private_segment_fixed_size 128
		.amdhsa_kernarg_size 368
		.amdhsa_user_sgpr_count 8
		.amdhsa_user_sgpr_private_segment_buffer 1
		.amdhsa_user_sgpr_dispatch_ptr 0
		.amdhsa_user_sgpr_queue_ptr 0
		.amdhsa_user_sgpr_kernarg_segment_ptr 1
		.amdhsa_user_sgpr_dispatch_id 0
		.amdhsa_user_sgpr_flat_scratch_init 1
		.amdhsa_user_sgpr_kernarg_preload_length 0
		.amdhsa_user_sgpr_kernarg_preload_offset 0
		.amdhsa_user_sgpr_private_segment_size 0
		.amdhsa_uses_dynamic_stack 0
		.amdhsa_system_sgpr_private_segment_wavefront_offset 1
		.amdhsa_system_sgpr_workgroup_id_x 1
		.amdhsa_system_sgpr_workgroup_id_y 1
		.amdhsa_system_sgpr_workgroup_id_z 0
		.amdhsa_system_sgpr_workgroup_info 0
		.amdhsa_system_vgpr_workitem_id 0
		.amdhsa_next_free_vgpr 110
		.amdhsa_next_free_sgpr 51
		.amdhsa_accum_offset 64
		.amdhsa_reserve_vcc 1
		.amdhsa_reserve_flat_scratch 1
		.amdhsa_float_round_mode_32 0
		.amdhsa_float_round_mode_16_64 0
		.amdhsa_float_denorm_mode_32 3
		.amdhsa_float_denorm_mode_16_64 3
		.amdhsa_dx10_clamp 1
		.amdhsa_ieee_mode 1
		.amdhsa_fp16_overflow 0
		.amdhsa_tg_split 0
		.amdhsa_exception_fp_ieee_invalid_op 0
		.amdhsa_exception_fp_denorm_src 0
		.amdhsa_exception_fp_ieee_div_zero 0
		.amdhsa_exception_fp_ieee_overflow 0
		.amdhsa_exception_fp_ieee_underflow 0
		.amdhsa_exception_fp_ieee_inexact 0
		.amdhsa_exception_int_div_zero 0
	.end_amdhsa_kernel
	.section	.text._ZN9rocsolver6v33100L18stedc_solve_kernelIdEEviiPT_lS3_lS3_iilPiS3_S4_S2_S2_S2_,"axG",@progbits,_ZN9rocsolver6v33100L18stedc_solve_kernelIdEEviiPT_lS3_lS3_iilPiS3_S4_S2_S2_S2_,comdat
.Lfunc_end36:
	.size	_ZN9rocsolver6v33100L18stedc_solve_kernelIdEEviiPT_lS3_lS3_iilPiS3_S4_S2_S2_S2_, .Lfunc_end36-_ZN9rocsolver6v33100L18stedc_solve_kernelIdEEviiPT_lS3_lS3_iilPiS3_S4_S2_S2_S2_
                                        ; -- End function
	.section	.AMDGPU.csdata,"",@progbits
; Kernel info:
; codeLenInByte = 536
; NumSgprs: 57
; NumVgprs: 64
; NumAgprs: 46
; TotalNumVgprs: 110
; ScratchSize: 128
; MemoryBound: 0
; FloatMode: 240
; IeeeMode: 1
; LDSByteSize: 48 bytes/workgroup (compile time only)
; SGPRBlocks: 7
; VGPRBlocks: 13
; NumSGPRsForWavesPerEU: 57
; NumVGPRsForWavesPerEU: 110
; AccumOffset: 64
; Occupancy: 4
; WaveLimiterHint : 0
; COMPUTE_PGM_RSRC2:SCRATCH_EN: 1
; COMPUTE_PGM_RSRC2:USER_SGPR: 8
; COMPUTE_PGM_RSRC2:TRAP_HANDLER: 0
; COMPUTE_PGM_RSRC2:TGID_X_EN: 1
; COMPUTE_PGM_RSRC2:TGID_Y_EN: 1
; COMPUTE_PGM_RSRC2:TGID_Z_EN: 0
; COMPUTE_PGM_RSRC2:TIDIG_COMP_CNT: 0
; COMPUTE_PGM_RSRC3_GFX90A:ACCUM_OFFSET: 15
; COMPUTE_PGM_RSRC3_GFX90A:TG_SPLIT: 0
	.section	.text._ZN9rocsolver6v33100L37stedc_mergePrepare_DeflateZero_kernelIdEEviiPT_lS3_lS3_iilS3_PiS2_,"axG",@progbits,_ZN9rocsolver6v33100L37stedc_mergePrepare_DeflateZero_kernelIdEEviiPT_lS3_lS3_iilS3_PiS2_,comdat
	.globl	_ZN9rocsolver6v33100L37stedc_mergePrepare_DeflateZero_kernelIdEEviiPT_lS3_lS3_iilS3_PiS2_ ; -- Begin function _ZN9rocsolver6v33100L37stedc_mergePrepare_DeflateZero_kernelIdEEviiPT_lS3_lS3_iilS3_PiS2_
	.p2align	8
	.type	_ZN9rocsolver6v33100L37stedc_mergePrepare_DeflateZero_kernelIdEEviiPT_lS3_lS3_iilS3_PiS2_,@function
_ZN9rocsolver6v33100L37stedc_mergePrepare_DeflateZero_kernelIdEEviiPT_lS3_lS3_iilS3_PiS2_: ; @_ZN9rocsolver6v33100L37stedc_mergePrepare_DeflateZero_kernelIdEEviiPT_lS3_lS3_iilS3_PiS2_
; %bb.0:
	s_load_dword s24, s[4:5], 0x4
	s_load_dwordx8 s[16:23], s[4:5], 0x8
	s_load_dwordx8 s[8:15], s[4:5], 0x38
	s_ashr_i32 s37, s7, 31
	s_waitcnt lgkmcnt(0)
	s_ashr_i32 s25, s24, 31
	s_mul_i32 s0, s7, s23
	s_mul_hi_u32 s1, s7, s22
	s_add_i32 s0, s1, s0
	s_mul_i32 s1, s37, s22
	s_add_i32 s1, s0, s1
	s_mul_i32 s0, s7, s22
	s_lshl_b64 s[0:1], s[0:1], 3
	s_mul_i32 s2, s7, s24
	s_add_u32 s20, s20, s0
	s_mul_i32 s0, s2, 13
	s_addc_u32 s21, s21, s1
	s_ashr_i32 s1, s0, 31
	s_lshl_b64 s[0:1], s[0:1], 2
	s_add_u32 s3, s12, s0
	s_addc_u32 s12, s13, s1
	s_lshl_b32 s0, s24, 3
	s_ashr_i32 s1, s0, 31
	s_lshl_b64 s[0:1], s[0:1], 2
	s_add_u32 s30, s3, s0
	s_addc_u32 s33, s12, s1
	s_mul_i32 s1, s24, 0xffffffe8
	s_mul_hi_i32 s0, s24, 0xffffffe8
	s_add_u32 s12, s30, s1
	s_mul_i32 s2, s2, 10
	s_addc_u32 s13, s33, s0
	s_ashr_i32 s3, s2, 31
	s_lshl_b64 s[0:1], s[24:25], 2
	s_lshl_b64 s[2:3], s[2:3], 3
	s_add_u32 s31, s10, s2
	s_mul_i32 s2, s24, 9
	s_addc_u32 s34, s11, s3
	s_ashr_i32 s3, s2, 31
	s_lshl_b64 s[2:3], s[2:3], 3
	s_add_u32 s35, s31, s2
	s_addc_u32 s36, s34, s3
	s_lshl_b32 s2, s6, 1
	s_ashr_i32 s3, s2, 31
	s_lshl_b64 s[2:3], s[2:3], 2
	s_add_u32 s2, s12, s2
	s_addc_u32 s3, s13, s3
	s_add_u32 s0, s2, s0
	s_addc_u32 s1, s3, s1
	s_load_dwordx2 s[10:11], s[0:1], 0x0
	s_waitcnt lgkmcnt(0)
	s_ashr_i32 s13, s11, 31
	s_mov_b32 s12, s11
	s_lshl_b64 s[0:1], s[12:13], 3
	s_add_u32 s0, s20, s0
	s_addc_u32 s1, s21, s1
	s_add_u32 s0, s0, -8
	s_addc_u32 s1, s1, -1
	s_load_dwordx2 s[22:23], s[0:1], 0x0
	s_load_dwordx2 s[20:21], s[2:3], 0x0
	;; [unrolled: 1-line block ×3, first 2 shown]
	s_waitcnt lgkmcnt(0)
	v_add_f64 v[2:3], s[22:23], s[22:23]
	s_add_i32 s11, s21, s20
	v_cmp_le_i32_e64 s[2:3], s11, v0
	v_cmp_gt_i32_e64 s[0:1], s11, v0
	s_and_saveexec_b64 s[22:23], s[0:1]
	s_cbranch_execz .LBB37_3
; %bb.1:
	s_load_dword s6, s[4:5], 0x64
	s_mov_b64 s[28:29], 0
	v_mov_b32_e32 v1, s36
	v_mov_b32_e32 v4, v0
	s_waitcnt lgkmcnt(0)
	s_and_b32 s6, s6, 0xffff
.LBB37_2:                               ; =>This Inner Loop Header: Depth=1
	v_add_u32_e32 v6, s10, v4
	v_add_u32_e32 v4, s6, v4
	v_ashrrev_i32_e32 v7, 31, v6
	v_cmp_le_i32_e32 vcc, s11, v4
	v_lshlrev_b64 v[6:7], 3, v[6:7]
	s_or_b64 s[28:29], vcc, s[28:29]
	v_add_co_u32_e32 v6, vcc, s35, v6
	v_addc_co_u32_e32 v7, vcc, v1, v7, vcc
	global_store_dwordx2 v[6:7], v[2:3], off
	s_andn2_b64 exec, exec, s[28:29]
	s_cbranch_execnz .LBB37_2
.LBB37_3:
	s_or_b64 exec, exec, s[22:23]
	s_load_dwordx2 s[22:23], s[4:5], 0x30
	s_mul_i32 s6, s7, s9
	s_mul_hi_u32 s9, s7, s8
	s_add_i32 s6, s9, s6
	s_mul_i32 s9, s37, s8
	s_add_i32 s9, s6, s9
	s_mul_i32 s8, s7, s8
	s_waitcnt lgkmcnt(0)
	s_ashr_i32 s29, s22, 31
	s_lshl_b64 s[8:9], s[8:9], 3
	s_mov_b32 s28, s22
	s_add_u32 s6, s26, s8
	s_addc_u32 s22, s27, s9
	s_lshl_b64 s[8:9], s[28:29], 3
	s_add_u32 s6, s6, s8
	s_addc_u32 s38, s22, s9
	v_cmp_gt_i32_e32 vcc, s20, v0
	v_pk_mov_b32 v[4:5], 0, 0
	s_and_saveexec_b64 s[8:9], vcc
	s_cbranch_execz .LBB37_7
; %bb.4:
	s_load_dword s22, s[4:5], 0x64
	v_add_u32_e32 v1, s10, v0
	s_mov_b64 s[26:27], 0
	v_mul_lo_u32 v1, s23, v1
	v_pk_mov_b32 v[4:5], 0, 0
	s_waitcnt lgkmcnt(0)
	s_and_b32 s22, s22, 0xffff
	s_add_u32 s39, s6, -8
	s_addc_u32 s28, s38, -1
	v_mov_b32_e32 v7, s28
	s_mov_b32 s28, 0x667f3bcd
	s_mul_i32 s40, s23, s22
	v_mov_b32_e32 v6, s13
	s_mov_b32 s29, 0x3ff6a09e
	v_mov_b32_e32 v8, s34
	v_mov_b32_e32 v9, v0
.LBB37_5:                               ; =>This Inner Loop Header: Depth=1
	v_ashrrev_i32_e32 v11, 31, v1
	v_add_co_u32_e32 v10, vcc, s12, v1
	v_addc_co_u32_e32 v11, vcc, v11, v6, vcc
	v_lshlrev_b64 v[10:11], 3, v[10:11]
	v_add_co_u32_e32 v10, vcc, s39, v10
	v_addc_co_u32_e32 v11, vcc, v7, v11, vcc
	global_load_dwordx2 v[10:11], v[10:11], off
	v_add_u32_e32 v12, s10, v9
	v_add_u32_e32 v9, s22, v9
	v_ashrrev_i32_e32 v13, 31, v12
	v_cmp_le_i32_e32 vcc, s20, v9
	v_lshlrev_b64 v[12:13], 3, v[12:13]
	s_or_b64 s[26:27], vcc, s[26:27]
	v_add_co_u32_e32 v12, vcc, s31, v12
	v_addc_co_u32_e32 v13, vcc, v8, v13, vcc
	v_add_u32_e32 v1, s40, v1
	s_waitcnt vmcnt(0)
	v_div_scale_f64 v[14:15], s[42:43], s[28:29], s[28:29], v[10:11]
	v_rcp_f64_e32 v[18:19], v[14:15]
	v_div_scale_f64 v[16:17], vcc, v[10:11], s[28:29], v[10:11]
	v_fma_f64 v[20:21], -v[14:15], v[18:19], 1.0
	v_fmac_f64_e32 v[18:19], v[18:19], v[20:21]
	v_fma_f64 v[20:21], -v[14:15], v[18:19], 1.0
	v_fmac_f64_e32 v[18:19], v[18:19], v[20:21]
	v_mul_f64 v[20:21], v[16:17], v[18:19]
	v_fma_f64 v[14:15], -v[14:15], v[20:21], v[16:17]
	v_div_fmas_f64 v[14:15], v[14:15], v[18:19], v[20:21]
	v_div_fixup_f64 v[10:11], v[14:15], s[28:29], v[10:11]
	global_store_dwordx2 v[12:13], v[10:11], off
	v_and_b32_e32 v12, 0x7fffffff, v11
	v_cmp_lt_f64_e64 vcc, v[4:5], |v[10:11]|
	v_cndmask_b32_e32 v5, v5, v12, vcc
	v_cndmask_b32_e32 v4, v4, v10, vcc
	s_andn2_b64 exec, exec, s[26:27]
	s_cbranch_execnz .LBB37_5
; %bb.6:
	s_or_b64 exec, exec, s[26:27]
.LBB37_7:
	s_or_b64 exec, exec, s[8:9]
	v_cmp_le_i32_e32 vcc, s21, v0
                                        ; implicit-def: $sgpr26_sgpr27
	s_and_saveexec_b64 s[8:9], vcc
	s_xor_b64 s[8:9], exec, s[8:9]
	s_cbranch_execz .LBB37_11
; %bb.8:
	s_add_u32 s26, s4, 0x58
	s_addc_u32 s27, s5, 0
	s_or_saveexec_b64 s[8:9], s[8:9]
	v_pk_mov_b32 v[8:9], s[26:27], s[26:27] op_sel:[0,1]
	s_xor_b64 exec, exec, s[8:9]
	s_cbranch_execnz .LBB37_12
.LBB37_9:
	s_or_b64 exec, exec, s[8:9]
                                        ; implicit-def: $sgpr4_sgpr5
                                        ; implicit-def: $vgpr10
                                        ; implicit-def: $vgpr1
	s_and_saveexec_b64 s[8:9], s[2:3]
	s_xor_b64 s[2:3], exec, s[8:9]
	s_cbranch_execz .LBB37_15
.LBB37_10:
	global_load_ushort v10, v[8:9], off offset:12
	s_mov_b64 s[4:5], 0
                                        ; implicit-def: $vgpr8_vgpr9
	s_waitcnt vmcnt(0)
	v_and_b32_e32 v1, 0xffff, v10
	s_or_saveexec_b64 s[2:3], s[2:3]
	v_pk_mov_b32 v[6:7], s[4:5], s[4:5] op_sel:[0,1]
	s_xor_b64 exec, exec, s[2:3]
	s_cbranch_execz .LBB37_19
	s_branch .LBB37_16
.LBB37_11:
	s_or_saveexec_b64 s[8:9], s[8:9]
	v_pk_mov_b32 v[8:9], s[26:27], s[26:27] op_sel:[0,1]
	s_xor_b64 exec, exec, s[8:9]
	s_cbranch_execz .LBB37_9
.LBB37_12:
	s_load_dword s13, s[4:5], 0x64
	s_add_u32 s4, s4, 0x58
	v_add_u32_e32 v1, s12, v0
	s_addc_u32 s5, s5, 0
	s_mov_b32 s26, 0x667f3bcd
	s_waitcnt lgkmcnt(0)
	s_and_b32 s13, s13, 0xffff
	v_mul_lo_u32 v1, s23, v1
	s_mul_i32 s20, s23, s13
	s_mov_b64 s[22:23], 0
	v_mov_b32_e32 v6, s38
	s_mov_b32 s27, 0x3ff6a09e
	v_mov_b32_e32 v7, s34
	v_mov_b32_e32 v8, v0
.LBB37_13:                              ; =>This Inner Loop Header: Depth=1
	v_add_u32_e32 v10, s12, v1
	v_ashrrev_i32_e32 v11, 31, v10
	v_lshlrev_b64 v[10:11], 3, v[10:11]
	v_add_co_u32_e32 v10, vcc, s6, v10
	v_addc_co_u32_e32 v11, vcc, v6, v11, vcc
	global_load_dwordx2 v[10:11], v[10:11], off
	v_add_u32_e32 v12, s12, v8
	v_add_u32_e32 v8, s13, v8
	v_ashrrev_i32_e32 v13, 31, v12
	v_cmp_le_i32_e32 vcc, s21, v8
	v_lshlrev_b64 v[12:13], 3, v[12:13]
	s_or_b64 s[22:23], vcc, s[22:23]
	v_add_co_u32_e32 v12, vcc, s31, v12
	v_addc_co_u32_e32 v13, vcc, v7, v13, vcc
	v_add_u32_e32 v1, s20, v1
	s_waitcnt vmcnt(0)
	v_div_scale_f64 v[14:15], s[28:29], s[26:27], s[26:27], v[10:11]
	v_rcp_f64_e32 v[18:19], v[14:15]
	v_div_scale_f64 v[16:17], vcc, v[10:11], s[26:27], v[10:11]
	v_fma_f64 v[20:21], -v[14:15], v[18:19], 1.0
	v_fmac_f64_e32 v[18:19], v[18:19], v[20:21]
	v_fma_f64 v[20:21], -v[14:15], v[18:19], 1.0
	v_fmac_f64_e32 v[18:19], v[18:19], v[20:21]
	v_mul_f64 v[20:21], v[16:17], v[18:19]
	v_fma_f64 v[14:15], -v[14:15], v[20:21], v[16:17]
	v_div_fmas_f64 v[14:15], v[14:15], v[18:19], v[20:21]
	v_div_fixup_f64 v[10:11], v[14:15], s[26:27], v[10:11]
	v_and_b32_e32 v9, 0x7fffffff, v11
	v_cmp_lt_f64_e64 vcc, v[4:5], |v[10:11]|
	v_cndmask_b32_e32 v5, v5, v9, vcc
	v_cndmask_b32_e32 v4, v4, v10, vcc
	global_store_dwordx2 v[12:13], v[10:11], off
	s_andn2_b64 exec, exec, s[22:23]
	s_cbranch_execnz .LBB37_13
; %bb.14:
	s_or_b64 exec, exec, s[22:23]
	v_pk_mov_b32 v[8:9], s[4:5], s[4:5] op_sel:[0,1]
	s_or_b64 exec, exec, s[8:9]
                                        ; implicit-def: $sgpr4_sgpr5
                                        ; implicit-def: $vgpr10
                                        ; implicit-def: $vgpr1
	s_and_saveexec_b64 s[8:9], s[2:3]
	s_xor_b64 s[2:3], exec, s[8:9]
	s_cbranch_execnz .LBB37_10
.LBB37_15:
	s_or_saveexec_b64 s[2:3], s[2:3]
	v_pk_mov_b32 v[6:7], s[4:5], s[4:5] op_sel:[0,1]
	s_xor_b64 exec, exec, s[2:3]
	s_cbranch_execz .LBB37_19
.LBB37_16:
	global_load_ushort v10, v[8:9], off offset:12
	s_mul_i32 s8, s7, s19
	s_mul_hi_u32 s9, s7, s18
	s_mul_i32 s12, s37, s18
	s_mul_i32 s6, s7, s18
	s_add_i32 s7, s9, s8
	s_add_i32 s7, s7, s12
	s_lshl_b64 s[6:7], s[6:7], 3
	s_add_u32 s6, s16, s6
	s_addc_u32 s7, s17, s7
	s_mov_b64 s[4:5], 0
	v_pk_mov_b32 v[6:7], 0, 0
	v_mov_b32_e32 v8, s7
	v_mov_b32_e32 v9, v0
	s_waitcnt vmcnt(0)
	v_and_b32_e32 v1, 0xffff, v10
.LBB37_17:                              ; =>This Inner Loop Header: Depth=1
	v_add_u32_e32 v12, s10, v9
	v_ashrrev_i32_e32 v13, 31, v12
	v_lshlrev_b64 v[12:13], 3, v[12:13]
	v_add_co_u32_e32 v12, vcc, s6, v12
	v_addc_co_u32_e32 v13, vcc, v8, v13, vcc
	global_load_dwordx2 v[12:13], v[12:13], off
	v_add_u32_e32 v9, v9, v1
	v_cmp_le_i32_e32 vcc, s11, v9
	s_or_b64 s[4:5], vcc, s[4:5]
	s_waitcnt vmcnt(0)
	v_and_b32_e32 v11, 0x7fffffff, v13
	v_cmp_lt_f64_e64 vcc, v[6:7], |v[12:13]|
	v_cndmask_b32_e32 v7, v7, v11, vcc
	v_cndmask_b32_e32 v6, v6, v12, vcc
	s_andn2_b64 exec, exec, s[4:5]
	s_cbranch_execnz .LBB37_17
; %bb.18:
	s_or_b64 exec, exec, s[4:5]
.LBB37_19:
	s_or_b64 exec, exec, s[2:3]
	v_lshlrev_b32_e32 v8, 3, v0
	v_cmp_lt_u16_e32 vcc, 1, v10
	ds_write2st64_b64 v8, v[6:7], v[4:5] offset1:8
	s_waitcnt lgkmcnt(0)
	s_barrier
	s_and_saveexec_b64 s[2:3], vcc
	s_cbranch_execz .LBB37_24
; %bb.20:
	v_or_b32_e32 v9, 0x1000, v8
	s_mov_b64 s[4:5], 0
	v_mov_b32_e32 v10, v1
	s_branch .LBB37_22
.LBB37_21:                              ;   in Loop: Header=BB37_22 Depth=1
	s_or_b64 exec, exec, s[6:7]
	v_cmp_gt_u32_e32 vcc, 4, v10
	s_or_b64 s[4:5], vcc, s[4:5]
	v_mov_b32_e32 v10, v11
	s_waitcnt lgkmcnt(0)
	s_barrier
	s_andn2_b64 exec, exec, s[4:5]
	s_cbranch_execz .LBB37_24
.LBB37_22:                              ; =>This Inner Loop Header: Depth=1
	v_lshrrev_b32_e32 v11, 1, v10
	v_cmp_lt_u32_e32 vcc, v0, v11
	s_and_saveexec_b64 s[6:7], vcc
	s_cbranch_execz .LBB37_21
; %bb.23:                               ;   in Loop: Header=BB37_22 Depth=1
	v_lshlrev_b32_e32 v14, 3, v11
	v_add_u32_e32 v12, v8, v14
	ds_read_b64 v[12:13], v12
	v_add_u32_e32 v14, v9, v14
	ds_read_b64 v[14:15], v14
	s_waitcnt lgkmcnt(1)
	v_cmp_lt_f64_e32 vcc, v[6:7], v[12:13]
	v_cndmask_b32_e32 v7, v7, v13, vcc
	v_cndmask_b32_e32 v6, v6, v12, vcc
	s_waitcnt lgkmcnt(0)
	v_cmp_lt_f64_e32 vcc, v[4:5], v[14:15]
	v_cndmask_b32_e32 v5, v5, v15, vcc
	v_cndmask_b32_e32 v4, v4, v14, vcc
	ds_write_b64 v8, v[6:7]
	ds_write_b64 v9, v[4:5]
	s_branch .LBB37_21
.LBB37_24:
	s_or_b64 exec, exec, s[2:3]
	s_and_saveexec_b64 s[2:3], s[0:1]
	s_cbranch_execz .LBB37_29
; %bb.25:
	v_mov_b32_e32 v4, 0
	ds_read2st64_b64 v[4:7], v4 offset1:8
	s_mul_i32 s1, s24, 0xffffffd8
	s_mul_hi_i32 s0, s24, 0xffffffd8
	s_add_u32 s2, s35, s1
	s_addc_u32 s4, s36, s0
	s_lshl_b64 s[0:1], s[24:25], 3
	s_waitcnt lgkmcnt(0)
	v_cmp_lt_f64_e32 vcc, v[4:5], v[6:7]
	s_add_u32 s3, s2, s0
	v_ldexp_f64 v[8:9], s[14:15], 3
	v_cndmask_b32_e32 v5, v5, v7, vcc
	v_cndmask_b32_e32 v4, v4, v6, vcc
	s_addc_u32 s5, s4, s1
	v_mul_f64 v[4:5], v[8:9], v[4:5]
	s_mov_b64 s[0:1], 0
	v_mov_b32_e32 v6, s4
	v_mov_b32_e32 v7, s5
	;; [unrolled: 1-line block ×3, first 2 shown]
.LBB37_26:                              ; =>This Inner Loop Header: Depth=1
	v_add_u32_e32 v10, s10, v8
	v_add_u32_e32 v8, v8, v1
	v_ashrrev_i32_e32 v11, 31, v10
	v_cmp_le_i32_e32 vcc, s11, v8
	v_lshlrev_b64 v[10:11], 3, v[10:11]
	s_or_b64 s[0:1], vcc, s[0:1]
	v_add_co_u32_e32 v12, vcc, s2, v10
	v_addc_co_u32_e32 v13, vcc, v6, v11, vcc
	v_add_co_u32_e32 v10, vcc, s3, v10
	v_addc_co_u32_e32 v11, vcc, v7, v11, vcc
	global_store_dwordx2 v[12:13], v[4:5], off
	global_store_dwordx2 v[10:11], v[4:5], off
	s_andn2_b64 exec, exec, s[0:1]
	s_cbranch_execnz .LBB37_26
; %bb.27:
	s_or_b64 exec, exec, s[0:1]
	s_mov_b64 s[0:1], 0
	v_mov_b32_e32 v6, s34
	v_mov_b32_e32 v7, s33
.LBB37_28:                              ; =>This Inner Loop Header: Depth=1
	v_add_u32_e32 v8, s10, v0
	v_ashrrev_i32_e32 v9, 31, v8
	v_lshlrev_b64 v[10:11], 3, v[8:9]
	v_add_co_u32_e32 v10, vcc, s31, v10
	v_addc_co_u32_e32 v11, vcc, v6, v11, vcc
	global_load_dwordx2 v[10:11], v[10:11], off
	v_add_u32_e32 v0, v0, v1
	v_cmp_le_i32_e32 vcc, s11, v0
	v_lshlrev_b64 v[8:9], 2, v[8:9]
	s_or_b64 s[0:1], vcc, s[0:1]
	v_add_co_u32_e32 v8, vcc, s30, v8
	v_addc_co_u32_e32 v9, vcc, v7, v9, vcc
	s_waitcnt vmcnt(0)
	v_mul_f64 v[10:11], v[2:3], v[10:11]
	v_cmp_nle_f64_e64 s[2:3], |v[10:11]|, v[4:5]
	v_cndmask_b32_e64 v10, 0, 1, s[2:3]
	global_store_dword v[8:9], v10, off
	s_andn2_b64 exec, exec, s[0:1]
	s_cbranch_execnz .LBB37_28
.LBB37_29:
	s_endpgm
	.section	.rodata,"a",@progbits
	.p2align	6, 0x0
	.amdhsa_kernel _ZN9rocsolver6v33100L37stedc_mergePrepare_DeflateZero_kernelIdEEviiPT_lS3_lS3_iilS3_PiS2_
		.amdhsa_group_segment_fixed_size 8192
		.amdhsa_private_segment_fixed_size 0
		.amdhsa_kernarg_size 344
		.amdhsa_user_sgpr_count 6
		.amdhsa_user_sgpr_private_segment_buffer 1
		.amdhsa_user_sgpr_dispatch_ptr 0
		.amdhsa_user_sgpr_queue_ptr 0
		.amdhsa_user_sgpr_kernarg_segment_ptr 1
		.amdhsa_user_sgpr_dispatch_id 0
		.amdhsa_user_sgpr_flat_scratch_init 0
		.amdhsa_user_sgpr_kernarg_preload_length 0
		.amdhsa_user_sgpr_kernarg_preload_offset 0
		.amdhsa_user_sgpr_private_segment_size 0
		.amdhsa_uses_dynamic_stack 0
		.amdhsa_system_sgpr_private_segment_wavefront_offset 0
		.amdhsa_system_sgpr_workgroup_id_x 1
		.amdhsa_system_sgpr_workgroup_id_y 1
		.amdhsa_system_sgpr_workgroup_id_z 0
		.amdhsa_system_sgpr_workgroup_info 0
		.amdhsa_system_vgpr_workitem_id 0
		.amdhsa_next_free_vgpr 22
		.amdhsa_next_free_sgpr 44
		.amdhsa_accum_offset 24
		.amdhsa_reserve_vcc 1
		.amdhsa_reserve_flat_scratch 0
		.amdhsa_float_round_mode_32 0
		.amdhsa_float_round_mode_16_64 0
		.amdhsa_float_denorm_mode_32 3
		.amdhsa_float_denorm_mode_16_64 3
		.amdhsa_dx10_clamp 1
		.amdhsa_ieee_mode 1
		.amdhsa_fp16_overflow 0
		.amdhsa_tg_split 0
		.amdhsa_exception_fp_ieee_invalid_op 0
		.amdhsa_exception_fp_denorm_src 0
		.amdhsa_exception_fp_ieee_div_zero 0
		.amdhsa_exception_fp_ieee_overflow 0
		.amdhsa_exception_fp_ieee_underflow 0
		.amdhsa_exception_fp_ieee_inexact 0
		.amdhsa_exception_int_div_zero 0
	.end_amdhsa_kernel
	.section	.text._ZN9rocsolver6v33100L37stedc_mergePrepare_DeflateZero_kernelIdEEviiPT_lS3_lS3_iilS3_PiS2_,"axG",@progbits,_ZN9rocsolver6v33100L37stedc_mergePrepare_DeflateZero_kernelIdEEviiPT_lS3_lS3_iilS3_PiS2_,comdat
.Lfunc_end37:
	.size	_ZN9rocsolver6v33100L37stedc_mergePrepare_DeflateZero_kernelIdEEviiPT_lS3_lS3_iilS3_PiS2_, .Lfunc_end37-_ZN9rocsolver6v33100L37stedc_mergePrepare_DeflateZero_kernelIdEEviiPT_lS3_lS3_iilS3_PiS2_
                                        ; -- End function
	.section	.AMDGPU.csdata,"",@progbits
; Kernel info:
; codeLenInByte = 1880
; NumSgprs: 48
; NumVgprs: 22
; NumAgprs: 0
; TotalNumVgprs: 22
; ScratchSize: 0
; MemoryBound: 0
; FloatMode: 240
; IeeeMode: 1
; LDSByteSize: 8192 bytes/workgroup (compile time only)
; SGPRBlocks: 5
; VGPRBlocks: 2
; NumSGPRsForWavesPerEU: 48
; NumVGPRsForWavesPerEU: 22
; AccumOffset: 24
; Occupancy: 8
; WaveLimiterHint : 1
; COMPUTE_PGM_RSRC2:SCRATCH_EN: 0
; COMPUTE_PGM_RSRC2:USER_SGPR: 6
; COMPUTE_PGM_RSRC2:TRAP_HANDLER: 0
; COMPUTE_PGM_RSRC2:TGID_X_EN: 1
; COMPUTE_PGM_RSRC2:TGID_Y_EN: 1
; COMPUTE_PGM_RSRC2:TGID_Z_EN: 0
; COMPUTE_PGM_RSRC2:TIDIG_COMP_CNT: 0
; COMPUTE_PGM_RSRC3_GFX90A:ACCUM_OFFSET: 5
; COMPUTE_PGM_RSRC3_GFX90A:TG_SPLIT: 0
	.section	.text._ZN9rocsolver6v33100L31stedc_mergePrepare_SortD_kernelIdEEviiPT_lS3_Pi,"axG",@progbits,_ZN9rocsolver6v33100L31stedc_mergePrepare_SortD_kernelIdEEviiPT_lS3_Pi,comdat
	.globl	_ZN9rocsolver6v33100L31stedc_mergePrepare_SortD_kernelIdEEviiPT_lS3_Pi ; -- Begin function _ZN9rocsolver6v33100L31stedc_mergePrepare_SortD_kernelIdEEviiPT_lS3_Pi
	.p2align	8
	.type	_ZN9rocsolver6v33100L31stedc_mergePrepare_SortD_kernelIdEEviiPT_lS3_Pi,@function
_ZN9rocsolver6v33100L31stedc_mergePrepare_SortD_kernelIdEEviiPT_lS3_Pi: ; @_ZN9rocsolver6v33100L31stedc_mergePrepare_SortD_kernelIdEEviiPT_lS3_Pi
; %bb.0:
	s_load_dword s24, s[4:5], 0x4
	s_load_dwordx8 s[16:23], s[4:5], 0x8
	s_load_dword s10, s[4:5], 0x34
	s_ashr_i32 s0, s7, 31
	v_mov_b32_e32 v2, 0
	s_waitcnt lgkmcnt(0)
	s_ashr_i32 s25, s24, 31
	s_mul_i32 s1, s7, s19
	s_mul_hi_u32 s2, s7, s18
	s_add_i32 s1, s2, s1
	s_mul_i32 s0, s0, s18
	s_add_i32 s1, s1, s0
	s_mul_i32 s0, s7, s18
	s_lshl_b64 s[0:1], s[0:1], 3
	s_mul_i32 s36, s7, s24
	s_add_u32 s38, s16, s0
	s_mul_i32 s0, s36, 13
	s_addc_u32 s39, s17, s1
	s_ashr_i32 s1, s0, 31
	s_lshl_b64 s[0:1], s[0:1], 2
	s_add_u32 s2, s22, s0
	s_addc_u32 s3, s23, s1
	s_lshl_b32 s0, s24, 3
	s_ashr_i32 s1, s0, 31
	s_lshl_b64 s[0:1], s[0:1], 2
	s_add_u32 s40, s2, s0
	s_addc_u32 s41, s3, s1
	s_lshl_b64 s[0:1], s[24:25], 2
	s_sub_u32 s25, s40, s0
	s_subb_u32 s33, s41, s1
	s_mul_i32 s3, s24, 12
	s_mul_hi_i32 s2, s24, 12
	s_add_u32 s34, s25, s3
	s_addc_u32 s35, s33, s2
	s_mul_i32 s3, s24, 0xffffffec
	s_mul_hi_i32 s2, s24, 0xffffffec
	s_add_u32 s8, s34, s3
	s_addc_u32 s9, s35, s2
	s_ashr_i32 s7, s6, 31
	s_lshl_b64 s[18:19], s[6:7], 3
	s_add_u32 s4, s38, s18
	s_addc_u32 s5, s39, s19
	s_lshl_b64 s[2:3], s[6:7], 2
	s_add_u32 s8, s8, s2
	s_addc_u32 s9, s9, s3
	s_add_u32 s0, s8, s0
	s_addc_u32 s1, s9, s1
	s_and_b32 s37, s10, 0xffff
	s_lshl_b32 s42, s37, 3
	v_cvt_f32_u32_e32 v1, s42
	s_load_dword s43, s[8:9], 0x0
	s_load_dwordx2 s[22:23], s[4:5], 0x0
	s_load_dword s7, s[0:1], 0x0
	s_sub_i32 s4, 0, s42
	v_rcp_iflag_f32_e32 v1, v1
	s_waitcnt lgkmcnt(0)
	s_add_i32 s0, s43, -1
	s_ashr_i32 s1, s0, 31
	v_mul_f32_e32 v1, 0x4f7ffffe, v1
	v_cvt_u32_f32_e32 v1, v1
	s_abs_i32 s0, s0
	v_readfirstlane_b32 s5, v1
	s_mul_i32 s4, s4, s5
	s_mul_hi_u32 s4, s5, s4
	s_add_i32 s5, s5, s4
	s_mul_hi_u32 s4, s0, s5
	s_mul_i32 s5, s4, s42
	s_sub_i32 s0, s0, s5
	s_add_i32 s5, s4, 1
	s_sub_i32 s8, s0, s42
	s_cmp_ge_u32 s0, s42
	s_cselect_b32 s4, s5, s4
	s_cselect_b32 s0, s8, s0
	s_add_i32 s5, s4, 1
	s_cmp_ge_u32 s0, s42
	s_cselect_b32 s0, s5, s4
	s_xor_b32 s0, s0, s1
	s_sub_i32 s4, s0, s1
	s_cmp_lt_i32 s4, 0
	s_mov_b64 s[0:1], -1
	v_mov_b32_e32 v1, 0
	s_cbranch_scc1 .LBB38_68
; %bb.1:
	s_add_u32 s0, s40, s2
	s_addc_u32 s1, s41, s3
	s_load_dword s44, s[0:1], 0x0
	s_lshl_b32 s0, s37, 1
	s_add_i32 s46, s7, s0
	s_mul_i32 s0, s37, 3
	s_add_i32 s47, s7, s0
	s_lshl_b32 s0, s37, 2
	s_add_i32 s48, s7, s0
	s_mul_i32 s0, s37, 5
	s_add_i32 s49, s7, s0
	s_mul_i32 s0, s37, 6
	;; [unrolled: 2-line block ×3, first 2 shown]
	s_add_i32 s45, s4, 1
	s_add_i32 s51, s7, s0
	;; [unrolled: 1-line block ×3, first 2 shown]
	v_mov_b32_e32 v1, 0
	v_mov_b32_e32 v26, v0
	;; [unrolled: 1-line block ×5, first 2 shown]
                                        ; implicit-def: $vgpr2_vgpr3_vgpr4_vgpr5_vgpr6_vgpr7_vgpr8_vgpr9_vgpr10_vgpr11_vgpr12_vgpr13_vgpr14_vgpr15_vgpr16_vgpr17
                                        ; implicit-def: $vgpr18_vgpr19_vgpr20_vgpr21_vgpr22_vgpr23_vgpr24_vgpr25
	s_branch .LBB38_4
.LBB38_2:                               ;   in Loop: Header=BB38_4 Depth=1
	s_or_b64 exec, exec, s[8:9]
	v_cmp_u_f64_e32 vcc, v[16:17], v[16:17]
	v_cndmask_b32_e64 v30, 0, 1, s[4:5]
	v_addc_co_u32_e32 v27, vcc, 0, v27, vcc
	v_add_u32_e32 v29, v29, v30
	v_cmp_lt_i32_e32 vcc, 0, v25
	v_cndmask_b32_e64 v30, 0, 1, s[0:1]
	v_addc_co_u32_e32 v1, vcc, 0, v1, vcc
	v_add_u32_e32 v28, v28, v30
.LBB38_3:                               ;   in Loop: Header=BB38_4 Depth=1
	s_or_b64 exec, exec, s[2:3]
	s_add_i32 s45, s45, -1
	s_cmp_eq_u32 s45, 0
	v_add_u32_e32 v26, s42, v26
	s_cbranch_scc1 .LBB38_67
.LBB38_4:                               ; =>This Inner Loop Header: Depth=1
	v_cmp_gt_i32_e64 s[14:15], s43, v26
	s_and_saveexec_b64 s[0:1], s[14:15]
	s_cbranch_execz .LBB38_6
; %bb.5:                                ;   in Loop: Header=BB38_4 Depth=1
	s_waitcnt vmcnt(1)
	v_add_u32_e32 v2, s7, v26
	v_ashrrev_i32_e32 v3, 31, v2
	v_lshlrev_b64 v[30:31], 2, v[2:3]
	s_waitcnt vmcnt(0)
	v_mov_b32_e32 v18, s41
	v_add_co_u32_e32 v30, vcc, s40, v30
	v_addc_co_u32_e32 v31, vcc, v18, v31, vcc
	v_lshlrev_b64 v[2:3], 3, v[2:3]
	v_mov_b32_e32 v18, s39
	v_add_co_u32_e32 v32, vcc, s38, v2
	v_addc_co_u32_e32 v33, vcc, v18, v3, vcc
	global_load_dwordx2 v[2:3], v[32:33], off
	global_load_dword v18, v[30:31], off
.LBB38_6:                               ;   in Loop: Header=BB38_4 Depth=1
	s_or_b64 exec, exec, s[0:1]
	v_add_u32_e32 v30, s37, v26
	v_cmp_gt_i32_e64 s[12:13], s43, v30
	s_and_saveexec_b64 s[0:1], s[12:13]
	s_cbranch_execz .LBB38_8
; %bb.7:                                ;   in Loop: Header=BB38_4 Depth=1
	s_waitcnt vmcnt(1)
	v_add_u32_e32 v4, s52, v26
	v_ashrrev_i32_e32 v5, 31, v4
	v_lshlrev_b64 v[32:33], 2, v[4:5]
	s_waitcnt vmcnt(0)
	v_mov_b32_e32 v19, s41
	v_add_co_u32_e32 v32, vcc, s40, v32
	v_addc_co_u32_e32 v33, vcc, v19, v33, vcc
	v_lshlrev_b64 v[4:5], 3, v[4:5]
	v_mov_b32_e32 v19, s39
	v_add_co_u32_e32 v34, vcc, s38, v4
	v_addc_co_u32_e32 v35, vcc, v19, v5, vcc
	global_load_dwordx2 v[4:5], v[34:35], off
	global_load_dword v19, v[32:33], off
.LBB38_8:                               ;   in Loop: Header=BB38_4 Depth=1
	s_or_b64 exec, exec, s[0:1]
	v_add_u32_e32 v30, s37, v30
	v_cmp_gt_i32_e64 s[10:11], s43, v30
	s_and_saveexec_b64 s[0:1], s[10:11]
	s_cbranch_execz .LBB38_10
; %bb.9:                                ;   in Loop: Header=BB38_4 Depth=1
	s_waitcnt vmcnt(1)
	v_add_u32_e32 v6, s46, v26
	v_ashrrev_i32_e32 v7, 31, v6
	v_lshlrev_b64 v[32:33], 2, v[6:7]
	s_waitcnt vmcnt(0)
	v_mov_b32_e32 v20, s41
	v_add_co_u32_e32 v32, vcc, s40, v32
	v_addc_co_u32_e32 v33, vcc, v20, v33, vcc
	v_lshlrev_b64 v[6:7], 3, v[6:7]
	v_mov_b32_e32 v20, s39
	v_add_co_u32_e32 v34, vcc, s38, v6
	v_addc_co_u32_e32 v35, vcc, v20, v7, vcc
	global_load_dwordx2 v[6:7], v[34:35], off
	global_load_dword v20, v[32:33], off
.LBB38_10:                              ;   in Loop: Header=BB38_4 Depth=1
	s_or_b64 exec, exec, s[0:1]
	v_add_u32_e32 v30, s37, v30
	v_cmp_gt_i32_e64 s[8:9], s43, v30
	s_and_saveexec_b64 s[0:1], s[8:9]
	s_cbranch_execz .LBB38_12
; %bb.11:                               ;   in Loop: Header=BB38_4 Depth=1
	s_waitcnt vmcnt(1)
	v_add_u32_e32 v8, s47, v26
	v_ashrrev_i32_e32 v9, 31, v8
	v_lshlrev_b64 v[32:33], 2, v[8:9]
	s_waitcnt vmcnt(0)
	v_mov_b32_e32 v21, s41
	v_add_co_u32_e32 v32, vcc, s40, v32
	v_addc_co_u32_e32 v33, vcc, v21, v33, vcc
	v_lshlrev_b64 v[8:9], 3, v[8:9]
	v_mov_b32_e32 v21, s39
	v_add_co_u32_e32 v34, vcc, s38, v8
	v_addc_co_u32_e32 v35, vcc, v21, v9, vcc
	global_load_dwordx2 v[8:9], v[34:35], off
	global_load_dword v21, v[32:33], off
.LBB38_12:                              ;   in Loop: Header=BB38_4 Depth=1
	s_or_b64 exec, exec, s[0:1]
	v_add_u32_e32 v30, s37, v30
	v_cmp_gt_i32_e64 s[4:5], s43, v30
	s_and_saveexec_b64 s[0:1], s[4:5]
	s_cbranch_execz .LBB38_14
; %bb.13:                               ;   in Loop: Header=BB38_4 Depth=1
	s_waitcnt vmcnt(1)
	v_add_u32_e32 v10, s48, v26
	v_ashrrev_i32_e32 v11, 31, v10
	v_lshlrev_b64 v[32:33], 2, v[10:11]
	s_waitcnt vmcnt(0)
	v_mov_b32_e32 v22, s41
	v_add_co_u32_e32 v32, vcc, s40, v32
	v_addc_co_u32_e32 v33, vcc, v22, v33, vcc
	v_lshlrev_b64 v[10:11], 3, v[10:11]
	v_mov_b32_e32 v22, s39
	v_add_co_u32_e32 v34, vcc, s38, v10
	v_addc_co_u32_e32 v35, vcc, v22, v11, vcc
	global_load_dwordx2 v[10:11], v[34:35], off
	global_load_dword v22, v[32:33], off
.LBB38_14:                              ;   in Loop: Header=BB38_4 Depth=1
	;; [unrolled: 21-line block ×4, first 2 shown]
	s_or_b64 exec, exec, s[16:17]
	v_add_u32_e32 v30, s37, v30
	v_cmp_gt_i32_e32 vcc, s43, v30
	s_and_saveexec_b64 s[26:27], vcc
	s_cbranch_execnz .LBB38_27
; %bb.19:                               ;   in Loop: Header=BB38_4 Depth=1
	s_or_b64 exec, exec, s[26:27]
	s_and_saveexec_b64 s[26:27], s[14:15]
	s_cbranch_execnz .LBB38_28
.LBB38_20:                              ;   in Loop: Header=BB38_4 Depth=1
	s_or_b64 exec, exec, s[26:27]
	s_and_saveexec_b64 s[16:17], s[12:13]
	s_cbranch_execnz .LBB38_33
.LBB38_21:                              ;   in Loop: Header=BB38_4 Depth=1
	s_or_b64 exec, exec, s[16:17]
	s_and_saveexec_b64 s[14:15], s[10:11]
	s_cbranch_execnz .LBB38_38
.LBB38_22:                              ;   in Loop: Header=BB38_4 Depth=1
	s_or_b64 exec, exec, s[14:15]
	s_and_saveexec_b64 s[12:13], s[8:9]
	s_cbranch_execnz .LBB38_43
.LBB38_23:                              ;   in Loop: Header=BB38_4 Depth=1
	s_or_b64 exec, exec, s[12:13]
	s_and_saveexec_b64 s[10:11], s[4:5]
	s_cbranch_execnz .LBB38_48
.LBB38_24:                              ;   in Loop: Header=BB38_4 Depth=1
	s_or_b64 exec, exec, s[10:11]
	s_and_saveexec_b64 s[8:9], s[2:3]
	s_cbranch_execnz .LBB38_53
.LBB38_25:                              ;   in Loop: Header=BB38_4 Depth=1
	s_or_b64 exec, exec, s[8:9]
	s_and_saveexec_b64 s[4:5], s[0:1]
	s_cbranch_execnz .LBB38_58
.LBB38_26:                              ;   in Loop: Header=BB38_4 Depth=1
	s_or_b64 exec, exec, s[4:5]
	s_and_saveexec_b64 s[2:3], vcc
	s_cbranch_execz .LBB38_3
	s_branch .LBB38_63
.LBB38_27:                              ;   in Loop: Header=BB38_4 Depth=1
	s_waitcnt vmcnt(1)
	v_add_u32_e32 v16, s51, v26
	v_ashrrev_i32_e32 v17, 31, v16
	v_lshlrev_b64 v[30:31], 2, v[16:17]
	s_waitcnt vmcnt(0)
	v_mov_b32_e32 v25, s41
	v_add_co_u32_e64 v30, s[16:17], s40, v30
	v_addc_co_u32_e64 v31, s[16:17], v25, v31, s[16:17]
	v_lshlrev_b64 v[16:17], 3, v[16:17]
	v_mov_b32_e32 v25, s39
	v_add_co_u32_e64 v16, s[16:17], s38, v16
	v_addc_co_u32_e64 v17, s[16:17], v25, v17, s[16:17]
	global_load_dwordx2 v[16:17], v[16:17], off
	s_nop 0
	global_load_dword v25, v[30:31], off
	s_or_b64 exec, exec, s[26:27]
	s_and_saveexec_b64 s[26:27], s[14:15]
	s_cbranch_execz .LBB38_20
.LBB38_28:                              ;   in Loop: Header=BB38_4 Depth=1
	s_waitcnt vmcnt(0) lgkmcnt(0)
	v_cmp_ge_i32_e64 s[14:15], s44, v18
	s_mov_b64 s[28:29], -1
	s_and_saveexec_b64 s[30:31], s[14:15]
; %bb.29:                               ;   in Loop: Header=BB38_4 Depth=1
	v_cmp_eq_u32_e64 s[14:15], s44, v18
	v_cmp_gt_f64_e64 s[16:17], s[22:23], v[2:3]
	s_and_b64 s[14:15], s[14:15], s[16:17]
	s_orn2_b64 s[28:29], s[14:15], exec
; %bb.30:                               ;   in Loop: Header=BB38_4 Depth=1
	s_or_b64 exec, exec, s[30:31]
	v_cmp_eq_u32_e64 s[14:15], s44, v18
	v_cmp_eq_f64_e64 s[16:17], s[22:23], v[2:3]
	s_and_b64 s[14:15], s[14:15], s[16:17]
	s_mov_b64 s[16:17], 0
	s_and_saveexec_b64 s[30:31], s[14:15]
; %bb.31:                               ;   in Loop: Header=BB38_4 Depth=1
	v_add_u32_e32 v30, s7, v26
	v_cmp_gt_i32_e64 s[14:15], s6, v30
	s_and_b64 s[16:17], s[14:15], exec
; %bb.32:                               ;   in Loop: Header=BB38_4 Depth=1
	s_or_b64 exec, exec, s[30:31]
	v_cmp_u_f64_e64 s[14:15], v[2:3], v[2:3]
	v_cndmask_b32_e64 v30, 0, 1, s[28:29]
	v_addc_co_u32_e64 v27, s[14:15], 0, v27, s[14:15]
	v_add_u32_e32 v29, v29, v30
	v_cmp_lt_i32_e64 s[14:15], 0, v18
	v_cndmask_b32_e64 v30, 0, 1, s[16:17]
	v_addc_co_u32_e64 v1, s[14:15], 0, v1, s[14:15]
	v_add_u32_e32 v28, v28, v30
	s_or_b64 exec, exec, s[26:27]
	s_and_saveexec_b64 s[16:17], s[12:13]
	s_cbranch_execz .LBB38_21
.LBB38_33:                              ;   in Loop: Header=BB38_4 Depth=1
	s_waitcnt vmcnt(0) lgkmcnt(0)
	v_cmp_ge_i32_e64 s[12:13], s44, v19
	s_mov_b64 s[26:27], -1
	s_and_saveexec_b64 s[28:29], s[12:13]
; %bb.34:                               ;   in Loop: Header=BB38_4 Depth=1
	v_cmp_eq_u32_e64 s[12:13], s44, v19
	v_cmp_gt_f64_e64 s[14:15], s[22:23], v[4:5]
	s_and_b64 s[12:13], s[12:13], s[14:15]
	s_orn2_b64 s[26:27], s[12:13], exec
; %bb.35:                               ;   in Loop: Header=BB38_4 Depth=1
	s_or_b64 exec, exec, s[28:29]
	v_cmp_eq_u32_e64 s[12:13], s44, v19
	v_cmp_eq_f64_e64 s[14:15], s[22:23], v[4:5]
	s_and_b64 s[12:13], s[12:13], s[14:15]
	s_mov_b64 s[14:15], 0
	s_and_saveexec_b64 s[28:29], s[12:13]
; %bb.36:                               ;   in Loop: Header=BB38_4 Depth=1
	v_add_u32_e32 v30, s52, v26
	v_cmp_gt_i32_e64 s[12:13], s6, v30
	s_and_b64 s[14:15], s[12:13], exec
; %bb.37:                               ;   in Loop: Header=BB38_4 Depth=1
	s_or_b64 exec, exec, s[28:29]
	v_cmp_u_f64_e64 s[12:13], v[4:5], v[4:5]
	v_cndmask_b32_e64 v30, 0, 1, s[26:27]
	v_addc_co_u32_e64 v27, s[12:13], 0, v27, s[12:13]
	v_add_u32_e32 v29, v29, v30
	v_cmp_lt_i32_e64 s[12:13], 0, v19
	v_cndmask_b32_e64 v30, 0, 1, s[14:15]
	v_addc_co_u32_e64 v1, s[12:13], 0, v1, s[12:13]
	v_add_u32_e32 v28, v28, v30
	s_or_b64 exec, exec, s[16:17]
	s_and_saveexec_b64 s[14:15], s[10:11]
	s_cbranch_execz .LBB38_22
.LBB38_38:                              ;   in Loop: Header=BB38_4 Depth=1
	s_waitcnt vmcnt(0) lgkmcnt(0)
	v_cmp_ge_i32_e64 s[10:11], s44, v20
	s_mov_b64 s[16:17], -1
	s_and_saveexec_b64 s[26:27], s[10:11]
; %bb.39:                               ;   in Loop: Header=BB38_4 Depth=1
	v_cmp_eq_u32_e64 s[10:11], s44, v20
	v_cmp_gt_f64_e64 s[12:13], s[22:23], v[6:7]
	s_and_b64 s[10:11], s[10:11], s[12:13]
	s_orn2_b64 s[16:17], s[10:11], exec
; %bb.40:                               ;   in Loop: Header=BB38_4 Depth=1
	s_or_b64 exec, exec, s[26:27]
	v_cmp_eq_u32_e64 s[10:11], s44, v20
	v_cmp_eq_f64_e64 s[12:13], s[22:23], v[6:7]
	s_and_b64 s[10:11], s[10:11], s[12:13]
	s_mov_b64 s[12:13], 0
	s_and_saveexec_b64 s[26:27], s[10:11]
; %bb.41:                               ;   in Loop: Header=BB38_4 Depth=1
	v_add_u32_e32 v30, s46, v26
	v_cmp_gt_i32_e64 s[10:11], s6, v30
	s_and_b64 s[12:13], s[10:11], exec
; %bb.42:                               ;   in Loop: Header=BB38_4 Depth=1
	s_or_b64 exec, exec, s[26:27]
	v_cmp_u_f64_e64 s[10:11], v[6:7], v[6:7]
	v_cndmask_b32_e64 v30, 0, 1, s[16:17]
	v_addc_co_u32_e64 v27, s[10:11], 0, v27, s[10:11]
	v_add_u32_e32 v29, v29, v30
	v_cmp_lt_i32_e64 s[10:11], 0, v20
	v_cndmask_b32_e64 v30, 0, 1, s[12:13]
	v_addc_co_u32_e64 v1, s[10:11], 0, v1, s[10:11]
	v_add_u32_e32 v28, v28, v30
	s_or_b64 exec, exec, s[14:15]
	s_and_saveexec_b64 s[12:13], s[8:9]
	s_cbranch_execz .LBB38_23
.LBB38_43:                              ;   in Loop: Header=BB38_4 Depth=1
	s_waitcnt vmcnt(0) lgkmcnt(0)
	v_cmp_ge_i32_e64 s[8:9], s44, v21
	s_mov_b64 s[14:15], -1
	s_and_saveexec_b64 s[16:17], s[8:9]
; %bb.44:                               ;   in Loop: Header=BB38_4 Depth=1
	v_cmp_eq_u32_e64 s[8:9], s44, v21
	v_cmp_gt_f64_e64 s[10:11], s[22:23], v[8:9]
	s_and_b64 s[8:9], s[8:9], s[10:11]
	s_orn2_b64 s[14:15], s[8:9], exec
; %bb.45:                               ;   in Loop: Header=BB38_4 Depth=1
	s_or_b64 exec, exec, s[16:17]
	v_cmp_eq_u32_e64 s[8:9], s44, v21
	v_cmp_eq_f64_e64 s[10:11], s[22:23], v[8:9]
	s_and_b64 s[8:9], s[8:9], s[10:11]
	s_mov_b64 s[10:11], 0
	s_and_saveexec_b64 s[16:17], s[8:9]
; %bb.46:                               ;   in Loop: Header=BB38_4 Depth=1
	v_add_u32_e32 v30, s47, v26
	v_cmp_gt_i32_e64 s[8:9], s6, v30
	s_and_b64 s[10:11], s[8:9], exec
; %bb.47:                               ;   in Loop: Header=BB38_4 Depth=1
	s_or_b64 exec, exec, s[16:17]
	v_cmp_u_f64_e64 s[8:9], v[8:9], v[8:9]
	v_cndmask_b32_e64 v30, 0, 1, s[14:15]
	v_addc_co_u32_e64 v27, s[8:9], 0, v27, s[8:9]
	v_add_u32_e32 v29, v29, v30
	v_cmp_lt_i32_e64 s[8:9], 0, v21
	v_cndmask_b32_e64 v30, 0, 1, s[10:11]
	v_addc_co_u32_e64 v1, s[8:9], 0, v1, s[8:9]
	v_add_u32_e32 v28, v28, v30
	s_or_b64 exec, exec, s[12:13]
	s_and_saveexec_b64 s[10:11], s[4:5]
	s_cbranch_execz .LBB38_24
.LBB38_48:                              ;   in Loop: Header=BB38_4 Depth=1
	s_waitcnt vmcnt(0) lgkmcnt(0)
	v_cmp_ge_i32_e64 s[4:5], s44, v22
	s_mov_b64 s[12:13], -1
	s_and_saveexec_b64 s[14:15], s[4:5]
; %bb.49:                               ;   in Loop: Header=BB38_4 Depth=1
	v_cmp_eq_u32_e64 s[4:5], s44, v22
	v_cmp_gt_f64_e64 s[8:9], s[22:23], v[10:11]
	s_and_b64 s[4:5], s[4:5], s[8:9]
	s_orn2_b64 s[12:13], s[4:5], exec
; %bb.50:                               ;   in Loop: Header=BB38_4 Depth=1
	s_or_b64 exec, exec, s[14:15]
	v_cmp_eq_u32_e64 s[4:5], s44, v22
	v_cmp_eq_f64_e64 s[8:9], s[22:23], v[10:11]
	s_and_b64 s[4:5], s[4:5], s[8:9]
	s_mov_b64 s[8:9], 0
	s_and_saveexec_b64 s[14:15], s[4:5]
; %bb.51:                               ;   in Loop: Header=BB38_4 Depth=1
	v_add_u32_e32 v30, s48, v26
	v_cmp_gt_i32_e64 s[4:5], s6, v30
	s_and_b64 s[8:9], s[4:5], exec
; %bb.52:                               ;   in Loop: Header=BB38_4 Depth=1
	s_or_b64 exec, exec, s[14:15]
	v_cmp_u_f64_e64 s[4:5], v[10:11], v[10:11]
	v_cndmask_b32_e64 v30, 0, 1, s[12:13]
	v_addc_co_u32_e64 v27, s[4:5], 0, v27, s[4:5]
	v_add_u32_e32 v29, v29, v30
	v_cmp_lt_i32_e64 s[4:5], 0, v22
	v_cndmask_b32_e64 v30, 0, 1, s[8:9]
	v_addc_co_u32_e64 v1, s[4:5], 0, v1, s[4:5]
	v_add_u32_e32 v28, v28, v30
	s_or_b64 exec, exec, s[10:11]
	s_and_saveexec_b64 s[8:9], s[2:3]
	s_cbranch_execz .LBB38_25
.LBB38_53:                              ;   in Loop: Header=BB38_4 Depth=1
	s_waitcnt vmcnt(0) lgkmcnt(0)
	v_cmp_ge_i32_e64 s[2:3], s44, v23
	s_mov_b64 s[10:11], -1
	s_and_saveexec_b64 s[12:13], s[2:3]
; %bb.54:                               ;   in Loop: Header=BB38_4 Depth=1
	v_cmp_eq_u32_e64 s[2:3], s44, v23
	v_cmp_gt_f64_e64 s[4:5], s[22:23], v[12:13]
	s_and_b64 s[2:3], s[2:3], s[4:5]
	s_orn2_b64 s[10:11], s[2:3], exec
; %bb.55:                               ;   in Loop: Header=BB38_4 Depth=1
	s_or_b64 exec, exec, s[12:13]
	v_cmp_eq_u32_e64 s[2:3], s44, v23
	v_cmp_eq_f64_e64 s[4:5], s[22:23], v[12:13]
	s_and_b64 s[2:3], s[2:3], s[4:5]
	s_mov_b64 s[4:5], 0
	s_and_saveexec_b64 s[12:13], s[2:3]
; %bb.56:                               ;   in Loop: Header=BB38_4 Depth=1
	v_add_u32_e32 v30, s49, v26
	v_cmp_gt_i32_e64 s[2:3], s6, v30
	s_and_b64 s[4:5], s[2:3], exec
; %bb.57:                               ;   in Loop: Header=BB38_4 Depth=1
	s_or_b64 exec, exec, s[12:13]
	v_cmp_u_f64_e64 s[2:3], v[12:13], v[12:13]
	v_cndmask_b32_e64 v30, 0, 1, s[10:11]
	v_addc_co_u32_e64 v27, s[2:3], 0, v27, s[2:3]
	v_add_u32_e32 v29, v29, v30
	v_cmp_lt_i32_e64 s[2:3], 0, v23
	v_cndmask_b32_e64 v30, 0, 1, s[4:5]
	v_addc_co_u32_e64 v1, s[2:3], 0, v1, s[2:3]
	v_add_u32_e32 v28, v28, v30
	s_or_b64 exec, exec, s[8:9]
	s_and_saveexec_b64 s[4:5], s[0:1]
	s_cbranch_execz .LBB38_26
.LBB38_58:                              ;   in Loop: Header=BB38_4 Depth=1
	s_waitcnt vmcnt(0) lgkmcnt(0)
	v_cmp_ge_i32_e64 s[0:1], s44, v24
	s_mov_b64 s[8:9], -1
	s_and_saveexec_b64 s[10:11], s[0:1]
; %bb.59:                               ;   in Loop: Header=BB38_4 Depth=1
	v_cmp_eq_u32_e64 s[0:1], s44, v24
	v_cmp_gt_f64_e64 s[2:3], s[22:23], v[14:15]
	s_and_b64 s[0:1], s[0:1], s[2:3]
	s_orn2_b64 s[8:9], s[0:1], exec
; %bb.60:                               ;   in Loop: Header=BB38_4 Depth=1
	s_or_b64 exec, exec, s[10:11]
	v_cmp_eq_u32_e64 s[0:1], s44, v24
	v_cmp_eq_f64_e64 s[2:3], s[22:23], v[14:15]
	s_and_b64 s[0:1], s[0:1], s[2:3]
	s_mov_b64 s[2:3], 0
	s_and_saveexec_b64 s[10:11], s[0:1]
; %bb.61:                               ;   in Loop: Header=BB38_4 Depth=1
	v_add_u32_e32 v30, s50, v26
	v_cmp_gt_i32_e64 s[0:1], s6, v30
	s_and_b64 s[2:3], s[0:1], exec
; %bb.62:                               ;   in Loop: Header=BB38_4 Depth=1
	s_or_b64 exec, exec, s[10:11]
	v_cmp_u_f64_e64 s[0:1], v[14:15], v[14:15]
	v_cndmask_b32_e64 v30, 0, 1, s[8:9]
	v_addc_co_u32_e64 v27, s[0:1], 0, v27, s[0:1]
	v_add_u32_e32 v29, v29, v30
	v_cmp_lt_i32_e64 s[0:1], 0, v24
	v_cndmask_b32_e64 v30, 0, 1, s[2:3]
	v_addc_co_u32_e64 v1, s[0:1], 0, v1, s[0:1]
	v_add_u32_e32 v28, v28, v30
	s_or_b64 exec, exec, s[4:5]
	s_and_saveexec_b64 s[2:3], vcc
	s_cbranch_execz .LBB38_3
.LBB38_63:                              ;   in Loop: Header=BB38_4 Depth=1
	s_waitcnt vmcnt(0) lgkmcnt(0)
	v_cmp_ge_i32_e32 vcc, s44, v25
	s_mov_b64 s[4:5], -1
	s_and_saveexec_b64 s[8:9], vcc
; %bb.64:                               ;   in Loop: Header=BB38_4 Depth=1
	v_cmp_eq_u32_e32 vcc, s44, v25
	v_cmp_gt_f64_e64 s[0:1], s[22:23], v[16:17]
	s_and_b64 s[0:1], vcc, s[0:1]
	s_orn2_b64 s[4:5], s[0:1], exec
; %bb.65:                               ;   in Loop: Header=BB38_4 Depth=1
	s_or_b64 exec, exec, s[8:9]
	v_cmp_eq_u32_e32 vcc, s44, v25
	v_cmp_eq_f64_e64 s[0:1], s[22:23], v[16:17]
	s_and_b64 s[10:11], vcc, s[0:1]
	s_mov_b64 s[0:1], 0
	s_and_saveexec_b64 s[8:9], s[10:11]
	s_cbranch_execz .LBB38_2
; %bb.66:                               ;   in Loop: Header=BB38_4 Depth=1
	v_add_u32_e32 v30, s51, v26
	v_cmp_gt_i32_e32 vcc, s6, v30
	s_and_b64 s[0:1], vcc, exec
	s_branch .LBB38_2
.LBB38_67:
	s_waitcnt vmcnt(1)
	v_add_u32_e32 v2, v28, v29
	v_cmp_eq_u32_e64 s[0:1], 0, v27
.LBB38_68:
	v_lshlrev_b32_e32 v3, 2, v0
	s_cmp_lt_u32 s37, 2
	ds_write2st64_b32 v3, v1, v2 offset1:8
	s_cbranch_scc1 .LBB38_74
; %bb.69:
	v_or_b32_e32 v4, 0x800, v3
.LBB38_70:                              ; =>This Inner Loop Header: Depth=1
	s_lshr_b32 s4, s37, 1
	v_cmp_gt_u32_e32 vcc, s4, v0
	s_waitcnt lgkmcnt(0)
	s_barrier
	s_and_saveexec_b64 s[2:3], vcc
	s_cbranch_execz .LBB38_72
; %bb.71:                               ;   in Loop: Header=BB38_70 Depth=1
	s_lshl_b32 s5, s4, 2
	v_add_u32_e32 v5, s5, v4
	v_add_u32_e32 v6, s5, v3
	ds_read_b32 v5, v5
	ds_read_b32 v6, v6
	s_waitcnt lgkmcnt(1)
	v_add_u32_e32 v2, v5, v2
	s_waitcnt lgkmcnt(0)
	v_add_u32_e32 v1, v6, v1
	ds_write_b32 v4, v2
	ds_write_b32 v3, v1
.LBB38_72:                              ;   in Loop: Header=BB38_70 Depth=1
	s_or_b64 exec, exec, s[2:3]
	s_cmp_lt_u32 s37, 4
	s_cbranch_scc1 .LBB38_74
; %bb.73:                               ;   in Loop: Header=BB38_70 Depth=1
	s_mov_b32 s37, s4
	s_branch .LBB38_70
.LBB38_74:
	s_mul_i32 s4, s36, 10
	s_mul_i32 s2, s24, 6
	s_ashr_i32 s5, s4, 31
	s_xor_b64 s[0:1], s[0:1], -1
	s_ashr_i32 s3, s2, 31
	s_lshl_b64 s[4:5], s[4:5], 3
	s_add_u32 s4, s20, s4
	s_addc_u32 s5, s21, s5
	s_lshl_b64 s[2:3], s[2:3], 3
	s_add_u32 s4, s4, s2
	s_addc_u32 s5, s5, s3
	v_cmp_eq_u32_e32 vcc, 0, v0
	s_and_saveexec_b64 s[2:3], vcc
	s_cbranch_execz .LBB38_76
; %bb.75:
	v_add_u32_e32 v2, s7, v2
	v_ashrrev_i32_e32 v3, 31, v2
	v_lshlrev_b64 v[4:5], 3, v[2:3]
	v_mov_b32_e32 v0, s5
	v_add_co_u32_e32 v4, vcc, s4, v4
	v_addc_co_u32_e32 v5, vcc, v0, v5, vcc
	v_lshlrev_b64 v[2:3], 2, v[2:3]
	v_mov_b32_e32 v0, s35
	v_add_co_u32_e32 v6, vcc, s34, v2
	v_addc_co_u32_e32 v7, vcc, v0, v3, vcc
	v_mov_b32_e32 v0, s33
	v_add_co_u32_e32 v2, vcc, s25, v2
	v_addc_co_u32_e32 v3, vcc, v0, v3, vcc
	v_mov_b32_e32 v0, s6
	global_store_dword v[2:3], v1, off
	global_store_dword v[6:7], v0, off
	v_pk_mov_b32 v[0:1], s[22:23], s[22:23] op_sel:[0,1]
	global_store_dwordx2 v[4:5], v[0:1], off
.LBB38_76:
	s_or_b64 exec, exec, s[2:3]
	s_waitcnt lgkmcnt(0)
	s_barrier
	s_and_saveexec_b64 s[2:3], s[0:1]
	s_cbranch_execz .LBB38_78
; %bb.77:
	s_add_u32 s0, s4, s18
	s_addc_u32 s1, s5, s19
	v_mov_b32_e32 v0, 0
	v_mov_b32_e32 v1, 0x7ff80000
	global_store_dwordx2 v0, v[0:1], s[0:1]
.LBB38_78:
	s_endpgm
	.section	.rodata,"a",@progbits
	.p2align	6, 0x0
	.amdhsa_kernel _ZN9rocsolver6v33100L31stedc_mergePrepare_SortD_kernelIdEEviiPT_lS3_Pi
		.amdhsa_group_segment_fixed_size 4096
		.amdhsa_private_segment_fixed_size 0
		.amdhsa_kernarg_size 296
		.amdhsa_user_sgpr_count 6
		.amdhsa_user_sgpr_private_segment_buffer 1
		.amdhsa_user_sgpr_dispatch_ptr 0
		.amdhsa_user_sgpr_queue_ptr 0
		.amdhsa_user_sgpr_kernarg_segment_ptr 1
		.amdhsa_user_sgpr_dispatch_id 0
		.amdhsa_user_sgpr_flat_scratch_init 0
		.amdhsa_user_sgpr_kernarg_preload_length 0
		.amdhsa_user_sgpr_kernarg_preload_offset 0
		.amdhsa_user_sgpr_private_segment_size 0
		.amdhsa_uses_dynamic_stack 0
		.amdhsa_system_sgpr_private_segment_wavefront_offset 0
		.amdhsa_system_sgpr_workgroup_id_x 1
		.amdhsa_system_sgpr_workgroup_id_y 1
		.amdhsa_system_sgpr_workgroup_id_z 0
		.amdhsa_system_sgpr_workgroup_info 0
		.amdhsa_system_vgpr_workitem_id 0
		.amdhsa_next_free_vgpr 36
		.amdhsa_next_free_sgpr 53
		.amdhsa_accum_offset 36
		.amdhsa_reserve_vcc 1
		.amdhsa_reserve_flat_scratch 0
		.amdhsa_float_round_mode_32 0
		.amdhsa_float_round_mode_16_64 0
		.amdhsa_float_denorm_mode_32 3
		.amdhsa_float_denorm_mode_16_64 3
		.amdhsa_dx10_clamp 1
		.amdhsa_ieee_mode 1
		.amdhsa_fp16_overflow 0
		.amdhsa_tg_split 0
		.amdhsa_exception_fp_ieee_invalid_op 0
		.amdhsa_exception_fp_denorm_src 0
		.amdhsa_exception_fp_ieee_div_zero 0
		.amdhsa_exception_fp_ieee_overflow 0
		.amdhsa_exception_fp_ieee_underflow 0
		.amdhsa_exception_fp_ieee_inexact 0
		.amdhsa_exception_int_div_zero 0
	.end_amdhsa_kernel
	.section	.text._ZN9rocsolver6v33100L31stedc_mergePrepare_SortD_kernelIdEEviiPT_lS3_Pi,"axG",@progbits,_ZN9rocsolver6v33100L31stedc_mergePrepare_SortD_kernelIdEEviiPT_lS3_Pi,comdat
.Lfunc_end38:
	.size	_ZN9rocsolver6v33100L31stedc_mergePrepare_SortD_kernelIdEEviiPT_lS3_Pi, .Lfunc_end38-_ZN9rocsolver6v33100L31stedc_mergePrepare_SortD_kernelIdEEviiPT_lS3_Pi
                                        ; -- End function
	.section	.AMDGPU.csdata,"",@progbits
; Kernel info:
; codeLenInByte = 3000
; NumSgprs: 57
; NumVgprs: 36
; NumAgprs: 0
; TotalNumVgprs: 36
; ScratchSize: 0
; MemoryBound: 0
; FloatMode: 240
; IeeeMode: 1
; LDSByteSize: 4096 bytes/workgroup (compile time only)
; SGPRBlocks: 7
; VGPRBlocks: 4
; NumSGPRsForWavesPerEU: 57
; NumVGPRsForWavesPerEU: 36
; AccumOffset: 36
; Occupancy: 8
; WaveLimiterHint : 1
; COMPUTE_PGM_RSRC2:SCRATCH_EN: 0
; COMPUTE_PGM_RSRC2:USER_SGPR: 6
; COMPUTE_PGM_RSRC2:TRAP_HANDLER: 0
; COMPUTE_PGM_RSRC2:TGID_X_EN: 1
; COMPUTE_PGM_RSRC2:TGID_Y_EN: 1
; COMPUTE_PGM_RSRC2:TGID_Z_EN: 0
; COMPUTE_PGM_RSRC2:TIDIG_COMP_CNT: 0
; COMPUTE_PGM_RSRC3_GFX90A:ACCUM_OFFSET: 8
; COMPUTE_PGM_RSRC3_GFX90A:TG_SPLIT: 0
	.section	.text._ZN9rocsolver6v33100L38stedc_mergePrepare_SetCandFlags_kernelIdEEviiPT_lS3_Pi,"axG",@progbits,_ZN9rocsolver6v33100L38stedc_mergePrepare_SetCandFlags_kernelIdEEviiPT_lS3_Pi,comdat
	.globl	_ZN9rocsolver6v33100L38stedc_mergePrepare_SetCandFlags_kernelIdEEviiPT_lS3_Pi ; -- Begin function _ZN9rocsolver6v33100L38stedc_mergePrepare_SetCandFlags_kernelIdEEviiPT_lS3_Pi
	.p2align	8
	.type	_ZN9rocsolver6v33100L38stedc_mergePrepare_SetCandFlags_kernelIdEEviiPT_lS3_Pi,@function
_ZN9rocsolver6v33100L38stedc_mergePrepare_SetCandFlags_kernelIdEEviiPT_lS3_Pi: ; @_ZN9rocsolver6v33100L38stedc_mergePrepare_SetCandFlags_kernelIdEEviiPT_lS3_Pi
; %bb.0:
	s_load_dword s0, s[4:5], 0x34
	s_load_dword s8, s[4:5], 0x4
	s_waitcnt lgkmcnt(0)
	s_and_b32 s0, s0, 0xffff
	s_mul_i32 s6, s6, s0
	v_add_u32_e32 v0, s6, v0
	v_cmp_gt_i32_e32 vcc, s8, v0
	s_and_saveexec_b64 s[0:1], vcc
	s_cbranch_execz .LBB39_6
; %bb.1:
	s_load_dwordx4 s[0:3], s[4:5], 0x18
	s_mul_i32 s10, s7, s8
	s_mul_i32 s4, s10, 13
	s_ashr_i32 s5, s4, 31
	s_lshl_b64 s[4:5], s[4:5], 2
	s_waitcnt lgkmcnt(0)
	s_add_u32 s4, s2, s4
	s_mul_i32 s2, s8, 6
	s_addc_u32 s5, s3, s5
	s_ashr_i32 s3, s2, 31
	s_lshl_b64 s[2:3], s[2:3], 2
	s_add_u32 s2, s4, s2
	s_addc_u32 s3, s5, s3
	s_ashr_i32 s9, s8, 31
	s_mul_i32 s5, s8, 20
	s_mul_hi_i32 s4, s8, 20
	s_add_u32 s6, s2, s5
	s_addc_u32 s7, s3, s4
	s_mul_i32 s4, s10, 10
	s_ashr_i32 s5, s4, 31
	s_lshl_b64 s[4:5], s[4:5], 3
	s_add_u32 s4, s0, s4
	s_addc_u32 s5, s1, s5
	s_lshl_b32 s0, s8, 2
	s_ashr_i32 s1, s0, 31
	s_lshl_b64 s[0:1], s[0:1], 3
	s_add_u32 s4, s4, s0
	s_addc_u32 s5, s5, s1
	s_lshl_b64 s[0:1], s[8:9], 4
	s_add_u32 s9, s4, s0
	v_add_u32_e32 v1, -1, v0
	v_cmp_lt_i32_e32 vcc, 0, v0
	s_addc_u32 s10, s5, s1
	v_cndmask_b32_e32 v12, 0, v1, vcc
	v_ashrrev_i32_e32 v1, 31, v0
	s_sub_u32 s11, s6, s0
	v_lshlrev_b64 v[2:3], 3, v[0:1]
	s_subb_u32 s12, s7, s1
	v_mov_b32_e32 v4, s5
	v_add_co_u32_e64 v10, s[0:1], s4, v2
	v_addc_co_u32_e64 v11, s[0:1], v4, v3, s[0:1]
	v_mov_b32_e32 v4, s10
	v_add_co_u32_e64 v2, s[0:1], s9, v2
	v_ashrrev_i32_e32 v13, 31, v12
	v_addc_co_u32_e64 v3, s[0:1], v4, v3, s[0:1]
	v_lshlrev_b64 v[4:5], 3, v[12:13]
	v_mov_b32_e32 v6, s10
	v_add_co_u32_e64 v14, s[0:1], s9, v4
	v_addc_co_u32_e64 v15, s[0:1], v6, v5, s[0:1]
	global_load_dwordx2 v[4:5], v[10:11], off
	global_load_dwordx2 v[6:7], v[2:3], off
	;; [unrolled: 1-line block ×3, first 2 shown]
	v_lshlrev_b64 v[2:3], 2, v[0:1]
	v_mov_b32_e32 v1, s12
	v_add_co_u32_e64 v14, s[0:1], s11, v2
	v_addc_co_u32_e64 v15, s[0:1], v1, v3, s[0:1]
	v_mov_b32_e32 v1, s3
	v_add_co_u32_e64 v16, s[0:1], s2, v2
	v_addc_co_u32_e64 v17, s[0:1], v1, v3, s[0:1]
	v_lshlrev_b64 v[12:13], 2, v[12:13]
	global_load_dword v1, v[14:15], off
	global_load_dword v10, v[16:17], off
	v_mov_b32_e32 v11, s3
	v_add_co_u32_e64 v12, s[0:1], s2, v12
	v_addc_co_u32_e64 v13, s[0:1], v11, v13, s[0:1]
	global_load_dword v11, v[12:13], off
	v_mov_b32_e32 v13, 0
	s_waitcnt vmcnt(2)
	v_add_u32_e32 v14, -1, v1
	s_waitcnt vmcnt(1)
	v_sub_u32_e32 v12, v0, v10
	v_cmp_lt_i32_e64 s[0:1], v12, v14
	s_and_saveexec_b64 s[4:5], s[0:1]
	s_cbranch_execz .LBB39_5
; %bb.2:
	v_add_u32_e32 v13, 1, v0
	v_cmp_gt_i32_e64 s[0:1], s8, v13
	v_cndmask_b32_e64 v14, v0, v13, s[0:1]
	v_ashrrev_i32_e32 v15, 31, v14
	v_lshlrev_b64 v[16:17], 3, v[14:15]
	v_mov_b32_e32 v13, s10
	v_add_co_u32_e64 v16, s[0:1], s9, v16
	v_addc_co_u32_e64 v17, s[0:1], v13, v17, s[0:1]
	v_lshlrev_b64 v[14:15], 2, v[14:15]
	v_mov_b32_e32 v13, s3
	v_add_co_u32_e64 v14, s[0:1], s2, v14
	v_addc_co_u32_e64 v15, s[0:1], v13, v15, s[0:1]
	global_load_dword v13, v[14:15], off
	global_load_dwordx2 v[18:19], v[16:17], off
	s_waitcnt vmcnt(1)
	v_cmp_eq_u32_e64 s[0:1], v10, v13
	s_waitcnt vmcnt(0)
	v_add_f64 v[14:15], v[6:7], -v[18:19]
	v_and_b32_e32 v15, 0x7fffffff, v15
	v_cmp_le_f64_e64 s[2:3], v[14:15], v[4:5]
	s_and_b64 s[0:1], s[0:1], s[2:3]
	v_mov_b32_e32 v13, 0
	s_and_saveexec_b64 s[2:3], s[0:1]
; %bb.3:
	s_add_i32 s0, s8, -1
	v_cmp_ne_u32_e64 s[0:1], s0, v0
	v_cndmask_b32_e64 v13, 0, 1, s[0:1]
; %bb.4:
	s_or_b64 exec, exec, s[2:3]
.LBB39_5:
	s_or_b64 exec, exec, s[4:5]
	v_cmp_ge_i32_e64 s[0:1], v12, v1
	v_add_f64 v[0:1], v[6:7], -v[8:9]
	s_waitcnt vmcnt(0)
	v_cmp_ne_u32_e64 s[2:3], v10, v11
	v_and_b32_e32 v1, 0x7fffffff, v1
	s_or_b64 s[2:3], s[0:1], s[2:3]
	v_cmp_nle_f64_e64 s[0:1], v[0:1], v[4:5]
	v_cndmask_b32_e64 v0, 0, 2, vcc
	s_or_b64 s[0:1], s[2:3], s[0:1]
	v_cndmask_b32_e64 v0, v0, 0, s[0:1]
	v_or_b32_e32 v4, v13, v0
	v_mov_b32_e32 v1, s7
	v_add_co_u32_e32 v0, vcc, s6, v2
	v_addc_co_u32_e32 v1, vcc, v1, v3, vcc
	global_store_dword v[0:1], v4, off
.LBB39_6:
	s_endpgm
	.section	.rodata,"a",@progbits
	.p2align	6, 0x0
	.amdhsa_kernel _ZN9rocsolver6v33100L38stedc_mergePrepare_SetCandFlags_kernelIdEEviiPT_lS3_Pi
		.amdhsa_group_segment_fixed_size 0
		.amdhsa_private_segment_fixed_size 0
		.amdhsa_kernarg_size 296
		.amdhsa_user_sgpr_count 6
		.amdhsa_user_sgpr_private_segment_buffer 1
		.amdhsa_user_sgpr_dispatch_ptr 0
		.amdhsa_user_sgpr_queue_ptr 0
		.amdhsa_user_sgpr_kernarg_segment_ptr 1
		.amdhsa_user_sgpr_dispatch_id 0
		.amdhsa_user_sgpr_flat_scratch_init 0
		.amdhsa_user_sgpr_kernarg_preload_length 0
		.amdhsa_user_sgpr_kernarg_preload_offset 0
		.amdhsa_user_sgpr_private_segment_size 0
		.amdhsa_uses_dynamic_stack 0
		.amdhsa_system_sgpr_private_segment_wavefront_offset 0
		.amdhsa_system_sgpr_workgroup_id_x 1
		.amdhsa_system_sgpr_workgroup_id_y 1
		.amdhsa_system_sgpr_workgroup_id_z 0
		.amdhsa_system_sgpr_workgroup_info 0
		.amdhsa_system_vgpr_workitem_id 0
		.amdhsa_next_free_vgpr 20
		.amdhsa_next_free_sgpr 13
		.amdhsa_accum_offset 20
		.amdhsa_reserve_vcc 1
		.amdhsa_reserve_flat_scratch 0
		.amdhsa_float_round_mode_32 0
		.amdhsa_float_round_mode_16_64 0
		.amdhsa_float_denorm_mode_32 3
		.amdhsa_float_denorm_mode_16_64 3
		.amdhsa_dx10_clamp 1
		.amdhsa_ieee_mode 1
		.amdhsa_fp16_overflow 0
		.amdhsa_tg_split 0
		.amdhsa_exception_fp_ieee_invalid_op 0
		.amdhsa_exception_fp_denorm_src 0
		.amdhsa_exception_fp_ieee_div_zero 0
		.amdhsa_exception_fp_ieee_overflow 0
		.amdhsa_exception_fp_ieee_underflow 0
		.amdhsa_exception_fp_ieee_inexact 0
		.amdhsa_exception_int_div_zero 0
	.end_amdhsa_kernel
	.section	.text._ZN9rocsolver6v33100L38stedc_mergePrepare_SetCandFlags_kernelIdEEviiPT_lS3_Pi,"axG",@progbits,_ZN9rocsolver6v33100L38stedc_mergePrepare_SetCandFlags_kernelIdEEviiPT_lS3_Pi,comdat
.Lfunc_end39:
	.size	_ZN9rocsolver6v33100L38stedc_mergePrepare_SetCandFlags_kernelIdEEviiPT_lS3_Pi, .Lfunc_end39-_ZN9rocsolver6v33100L38stedc_mergePrepare_SetCandFlags_kernelIdEEviiPT_lS3_Pi
                                        ; -- End function
	.section	.AMDGPU.csdata,"",@progbits
; Kernel info:
; codeLenInByte = 712
; NumSgprs: 17
; NumVgprs: 20
; NumAgprs: 0
; TotalNumVgprs: 20
; ScratchSize: 0
; MemoryBound: 0
; FloatMode: 240
; IeeeMode: 1
; LDSByteSize: 0 bytes/workgroup (compile time only)
; SGPRBlocks: 2
; VGPRBlocks: 2
; NumSGPRsForWavesPerEU: 17
; NumVGPRsForWavesPerEU: 20
; AccumOffset: 20
; Occupancy: 8
; WaveLimiterHint : 0
; COMPUTE_PGM_RSRC2:SCRATCH_EN: 0
; COMPUTE_PGM_RSRC2:USER_SGPR: 6
; COMPUTE_PGM_RSRC2:TRAP_HANDLER: 0
; COMPUTE_PGM_RSRC2:TGID_X_EN: 1
; COMPUTE_PGM_RSRC2:TGID_Y_EN: 1
; COMPUTE_PGM_RSRC2:TGID_Z_EN: 0
; COMPUTE_PGM_RSRC2:TIDIG_COMP_CNT: 0
; COMPUTE_PGM_RSRC3_GFX90A:ACCUM_OFFSET: 4
; COMPUTE_PGM_RSRC3_GFX90A:TG_SPLIT: 0
	.section	.text._ZN9rocsolver6v33100L38stedc_mergePrepare_DeflateCount_kernelIdEEviiPT_lS3_Pi,"axG",@progbits,_ZN9rocsolver6v33100L38stedc_mergePrepare_DeflateCount_kernelIdEEviiPT_lS3_Pi,comdat
	.globl	_ZN9rocsolver6v33100L38stedc_mergePrepare_DeflateCount_kernelIdEEviiPT_lS3_Pi ; -- Begin function _ZN9rocsolver6v33100L38stedc_mergePrepare_DeflateCount_kernelIdEEviiPT_lS3_Pi
	.p2align	8
	.type	_ZN9rocsolver6v33100L38stedc_mergePrepare_DeflateCount_kernelIdEEviiPT_lS3_Pi,@function
_ZN9rocsolver6v33100L38stedc_mergePrepare_DeflateCount_kernelIdEEviiPT_lS3_Pi: ; @_ZN9rocsolver6v33100L38stedc_mergePrepare_DeflateCount_kernelIdEEviiPT_lS3_Pi
; %bb.0:
	s_load_dword s12, s[4:5], 0x4
	s_load_dwordx4 s[8:11], s[4:5], 0x18
	s_load_dword s2, s[4:5], 0x34
	s_waitcnt lgkmcnt(0)
	s_mul_i32 s20, s7, s12
	s_mul_i32 s0, s20, 13
	s_ashr_i32 s1, s0, 31
	s_lshl_b64 s[14:15], s[0:1], 2
	s_add_u32 s3, s10, s14
	s_mul_i32 s0, s12, 9
	s_addc_u32 s4, s11, s15
	s_ashr_i32 s1, s0, 31
	s_lshl_b64 s[16:17], s[0:1], 2
	s_add_u32 s24, s3, s16
	s_addc_u32 s25, s4, s17
	s_ashr_i32 s13, s12, 31
	s_lshl_b64 s[18:19], s[12:13], 3
	s_add_u32 s21, s24, s18
	s_addc_u32 s22, s25, s19
	s_and_b32 s27, s2, 0xffff
	s_mul_i32 s26, s6, s27
	v_add_u32_e32 v2, s26, v0
	v_add_u32_e32 v1, -1, v2
	v_cmp_lt_i32_e32 vcc, 0, v2
	v_cndmask_b32_e32 v4, 0, v1, vcc
	v_cmp_gt_i32_e32 vcc, s12, v4
	s_mov_b64 s[4:5], -1
	s_and_saveexec_b64 s[0:1], vcc
	s_cbranch_execz .LBB40_2
; %bb.1:
	v_ashrrev_i32_e32 v5, 31, v4
	v_lshlrev_b64 v[4:5], 2, v[4:5]
	v_mov_b32_e32 v1, s22
	v_add_co_u32_e32 v4, vcc, s21, v4
	v_addc_co_u32_e32 v5, vcc, v1, v5, vcc
	global_load_dword v1, v[4:5], off
	s_waitcnt vmcnt(0)
	v_and_b32_e32 v1, 1, v1
	v_cmp_eq_u32_e32 vcc, 0, v1
	s_orn2_b64 s[4:5], vcc, exec
.LBB40_2:
	s_or_b64 exec, exec, s[0:1]
	v_cmp_le_i32_e32 vcc, s12, v2
	v_cmp_gt_i32_e64 s[0:1], s12, v2
	s_mov_b64 s[2:3], 0
	v_ashrrev_i32_e32 v3, 31, v2
	s_and_saveexec_b64 s[6:7], s[0:1]
	s_cbranch_execz .LBB40_4
; %bb.3:
	v_lshlrev_b64 v[4:5], 2, v[2:3]
	v_mov_b32_e32 v1, s22
	v_add_co_u32_e64 v4, s[2:3], s21, v4
	v_addc_co_u32_e64 v5, s[2:3], v1, v5, s[2:3]
	global_load_dword v1, v[4:5], off
	s_waitcnt vmcnt(0)
	v_and_b32_e32 v1, 1, v1
	v_cmp_eq_u32_e64 s[2:3], 1, v1
	s_and_b64 s[2:3], s[2:3], exec
.LBB40_4:
	s_or_b64 exec, exec, s[6:7]
	s_mul_i32 s6, s20, 10
	s_ashr_i32 s7, s6, 31
	s_lshl_b64 s[6:7], s[6:7], 3
	s_add_u32 s22, s8, s6
	s_mul_i32 s20, s12, 6
	s_addc_u32 s23, s9, s7
	s_ashr_i32 s21, s20, 31
	s_lshl_b64 s[20:21], s[20:21], 3
	s_add_u32 s28, s22, s20
	s_addc_u32 s29, s23, s21
	v_pk_mov_b32 v[4:5], 0, 0
	s_and_saveexec_b64 s[22:23], s[0:1]
	s_cbranch_execz .LBB40_6
; %bb.5:
	v_lshlrev_b64 v[4:5], 3, v[2:3]
	v_mov_b32_e32 v1, s29
	v_add_co_u32_e64 v4, s[0:1], s28, v4
	v_addc_co_u32_e64 v5, s[0:1], v1, v5, s[0:1]
	global_load_dwordx2 v[4:5], v[4:5], off
.LBB40_6:
	s_or_b64 exec, exec, s[22:23]
                                        ; implicit-def: $sgpr22_sgpr23
	s_and_saveexec_b64 s[0:1], vcc
	s_xor_b64 s[0:1], exec, s[0:1]
	s_cbranch_execz .LBB40_8
; %bb.7:
	s_mov_b64 s[22:23], 0
	s_or_saveexec_b64 s[0:1], s[0:1]
	v_pk_mov_b32 v[6:7], s[22:23], s[22:23] op_sel:[0,1]
	s_xor_b64 exec, exec, s[0:1]
	s_cbranch_execnz .LBB40_9
	s_branch .LBB40_10
.LBB40_8:
	s_or_saveexec_b64 s[0:1], s[0:1]
	v_pk_mov_b32 v[6:7], s[22:23], s[22:23] op_sel:[0,1]
	s_xor_b64 exec, exec, s[0:1]
	s_cbranch_execz .LBB40_10
.LBB40_9:
	s_lshl_b64 s[22:23], s[12:13], 4
	s_sub_u32 s13, s28, s22
	s_subb_u32 s22, s29, s23
	v_lshlrev_b64 v[6:7], 3, v[2:3]
	v_mov_b32_e32 v1, s22
	v_add_co_u32_e32 v6, vcc, s13, v6
	v_addc_co_u32_e32 v7, vcc, v1, v7, vcc
	global_load_dwordx2 v[6:7], v[6:7], off
.LBB40_10:
	s_or_b64 exec, exec, s[0:1]
	s_lshl_b32 s22, s27, 3
	s_add_u32 s0, s18, s14
	s_addc_u32 s1, s19, s15
	s_add_u32 s13, s0, s16
	s_addc_u32 s14, s1, s17
	;; [unrolled: 2-line block ×3, first 2 shown]
	s_lshl_b32 s17, s27, 2
	s_add_u32 s15, s6, s20
	v_lshlrev_b64 v[8:9], 2, v[2:3]
	s_addc_u32 s16, s7, s21
	v_mov_b32_e32 v1, s1
	v_add_co_u32_e32 v8, vcc, s0, v8
	s_add_u32 s0, s8, s15
	v_addc_co_u32_e32 v9, vcc, v1, v9, vcc
	v_lshlrev_b64 v[10:11], 3, v[2:3]
	s_addc_u32 s1, s9, s16
	v_lshlrev_b32_e32 v14, 3, v0
	s_mov_b32 s18, 0
	v_mov_b32_e32 v1, s1
	v_add_co_u32_e32 v10, vcc, s0, v10
	v_lshlrev_b32_e32 v15, 2, v0
	v_addc_co_u32_e32 v11, vcc, v1, v11, vcc
	v_or_b32_e32 v1, 0x8000, v15
	s_mov_b64 s[0:1], 0
	v_mov_b32_e32 v16, s18
	v_mov_b32_e32 v17, s18
	s_movk_i32 s18, 0xfff
	v_mov_b32_e32 v18, v14
	v_mov_b32_e32 v19, v0
	s_branch .LBB40_12
.LBB40_11:                              ;   in Loop: Header=BB40_12 Depth=1
	s_or_b64 exec, exec, s[6:7]
	v_add_co_u32_e32 v8, vcc, s17, v8
	v_addc_co_u32_e32 v9, vcc, v9, v16, vcc
	v_add_co_u32_e32 v10, vcc, s22, v10
	v_add_u32_e32 v19, s27, v19
	v_addc_co_u32_e32 v11, vcc, v11, v17, vcc
	v_cmp_lt_u32_e32 vcc, s18, v19
	s_waitcnt vmcnt(1)
	ds_write_b64 v18, v[12:13]
	s_waitcnt vmcnt(0)
	ds_write_b32 v1, v20
	v_add_u32_e32 v18, s22, v18
	s_or_b64 s[0:1], vcc, s[0:1]
	v_add_u32_e32 v1, s17, v1
	s_andn2_b64 exec, exec, s[0:1]
	s_cbranch_execz .LBB40_14
.LBB40_12:                              ; =>This Inner Loop Header: Depth=1
	v_add_u32_e32 v12, s26, v19
	v_cmp_gt_i32_e32 vcc, s12, v12
	v_pk_mov_b32 v[12:13], 0, 0
	v_mov_b32_e32 v20, 0
	s_and_saveexec_b64 s[6:7], vcc
	s_cbranch_execz .LBB40_11
; %bb.13:                               ;   in Loop: Header=BB40_12 Depth=1
	global_load_dwordx2 v[12:13], v[10:11], off
	global_load_dword v20, v[8:9], off
	s_branch .LBB40_11
.LBB40_14:
	s_or_b64 exec, exec, s[0:1]
	v_cmp_eq_u32_e32 vcc, 0, v2
	s_or_b64 s[0:1], vcc, s[4:5]
	s_and_b64 s[0:1], s[2:3], s[0:1]
	s_waitcnt lgkmcnt(0)
	s_barrier
	s_and_saveexec_b64 s[2:3], s[0:1]
	s_cbranch_execz .LBB40_22
; %bb.15:
	ds_read_b32 v1, v15 offset:32776
	v_add_u32_e32 v10, 2, v2
	v_cmp_gt_i32_e32 vcc, s12, v10
	s_waitcnt lgkmcnt(0)
	v_and_b32_e32 v1, 2, v1
	v_cmp_ne_u32_e64 s[0:1], 0, v1
	s_and_b64 s[0:1], vcc, s[0:1]
	s_and_saveexec_b64 s[2:3], s[0:1]
	s_cbranch_execz .LBB40_21
; %bb.16:
	v_ashrrev_i32_e32 v11, 31, v10
	s_add_u32 s0, s10, s13
	v_lshlrev_b64 v[8:9], 2, v[10:11]
	s_addc_u32 s1, s11, s14
	v_mov_b32_e32 v1, s1
	v_add_co_u32_e32 v3, vcc, s0, v8
	v_addc_co_u32_e32 v1, vcc, v1, v9, vcc
	v_add_co_u32_e32 v8, vcc, 4, v3
	s_add_u32 s0, s8, s15
	v_addc_co_u32_e32 v1, vcc, 0, v1, vcc
	v_lshlrev_b64 v[10:11], 3, v[10:11]
	s_addc_u32 s1, s9, s16
	v_mov_b32_e32 v3, s1
	v_add_co_u32_e32 v10, vcc, s0, v10
	s_mov_b64 s[0:1], src_shared_base
	v_addc_co_u32_e32 v9, vcc, v3, v11, vcc
	v_add_u32_e32 v11, 0x800c, v15
	v_add_u32_e32 v14, 16, v14
	s_mov_b64 s[4:5], 0
	s_movk_i32 s6, 0x1000
	v_mov_b32_e32 v15, s1
	s_branch .LBB40_18
.LBB40_17:                              ;   in Loop: Header=BB40_18 Depth=1
	s_or_b64 exec, exec, s[0:1]
	v_add_u32_e32 v3, 3, v0
	v_cmp_gt_i32_e32 vcc, s6, v3
	v_cndmask_b32_e32 v13, v1, v15, vcc
	v_cndmask_b32_e32 v12, v8, v11, vcc
	flat_load_dword v3, v[12:13]
	v_add_co_u32_e32 v10, vcc, 8, v10
	v_add_co_u32_e64 v8, s[0:1], 4, v8
	v_add_u32_e32 v12, 3, v16
	v_addc_co_u32_e32 v9, vcc, 0, v9, vcc
	v_addc_co_u32_e64 v1, s[0:1], 0, v1, s[0:1]
	v_cmp_le_i32_e32 vcc, s12, v12
	v_add_u32_e32 v0, 1, v0
	v_add_u32_e32 v11, 4, v11
	;; [unrolled: 1-line block ×3, first 2 shown]
	s_waitcnt vmcnt(0) lgkmcnt(0)
	v_and_b32_e32 v3, 2, v3
	v_cmp_eq_u32_e64 s[0:1], 0, v3
	s_or_b64 s[0:1], vcc, s[0:1]
	s_and_b64 s[0:1], exec, s[0:1]
	s_or_b64 s[4:5], s[0:1], s[4:5]
	s_andn2_b64 exec, exec, s[4:5]
	s_cbranch_execz .LBB40_20
.LBB40_18:                              ; =>This Inner Loop Header: Depth=1
	v_add_u32_e32 v3, 2, v0
	v_cmp_gt_i32_e32 vcc, s6, v3
	v_cndmask_b32_e32 v13, v9, v15, vcc
	v_cndmask_b32_e32 v12, v10, v14, vcc
	flat_load_dwordx2 v[12:13], v[12:13]
	v_add_u32_e32 v16, s26, v0
	s_waitcnt vmcnt(0) lgkmcnt(0)
	v_add_f64 v[18:19], v[12:13], -v[4:5]
	v_cmp_gt_f64_e32 vcc, v[18:19], v[6:7]
	s_and_saveexec_b64 s[0:1], vcc
	s_cbranch_execz .LBB40_17
; %bb.19:                               ;   in Loop: Header=BB40_18 Depth=1
	v_ashrrev_i32_e32 v3, 31, v2
	v_lshlrev_b64 v[4:5], 2, v[2:3]
	v_mov_b32_e32 v3, s25
	v_add_co_u32_e32 v4, vcc, s24, v4
	v_sub_u32_e32 v2, v16, v2
	v_add_u32_e32 v17, 2, v16
	v_addc_co_u32_e32 v5, vcc, v3, v5, vcc
	v_add_u32_e32 v2, 1, v2
	global_store_dword v[4:5], v2, off
	v_pk_mov_b32 v[4:5], v[12:13], v[12:13] op_sel:[0,1]
	v_mov_b32_e32 v2, v17
	s_branch .LBB40_17
.LBB40_20:
	s_or_b64 exec, exec, s[4:5]
	v_add3_u32 v10, s26, v0, 2
	v_ashrrev_i32_e32 v3, 31, v2
.LBB40_21:
	s_or_b64 exec, exec, s[2:3]
	v_lshlrev_b64 v[0:1], 2, v[2:3]
	v_xad_u32 v4, v2, -1, v10
	v_mov_b32_e32 v2, s25
	v_add_co_u32_e32 v0, vcc, s24, v0
	v_addc_co_u32_e32 v1, vcc, v2, v1, vcc
	global_store_dword v[0:1], v4, off
.LBB40_22:
	s_endpgm
	.section	.rodata,"a",@progbits
	.p2align	6, 0x0
	.amdhsa_kernel _ZN9rocsolver6v33100L38stedc_mergePrepare_DeflateCount_kernelIdEEviiPT_lS3_Pi
		.amdhsa_group_segment_fixed_size 49152
		.amdhsa_private_segment_fixed_size 0
		.amdhsa_kernarg_size 296
		.amdhsa_user_sgpr_count 6
		.amdhsa_user_sgpr_private_segment_buffer 1
		.amdhsa_user_sgpr_dispatch_ptr 0
		.amdhsa_user_sgpr_queue_ptr 0
		.amdhsa_user_sgpr_kernarg_segment_ptr 1
		.amdhsa_user_sgpr_dispatch_id 0
		.amdhsa_user_sgpr_flat_scratch_init 0
		.amdhsa_user_sgpr_kernarg_preload_length 0
		.amdhsa_user_sgpr_kernarg_preload_offset 0
		.amdhsa_user_sgpr_private_segment_size 0
		.amdhsa_uses_dynamic_stack 0
		.amdhsa_system_sgpr_private_segment_wavefront_offset 0
		.amdhsa_system_sgpr_workgroup_id_x 1
		.amdhsa_system_sgpr_workgroup_id_y 1
		.amdhsa_system_sgpr_workgroup_id_z 0
		.amdhsa_system_sgpr_workgroup_info 0
		.amdhsa_system_vgpr_workitem_id 0
		.amdhsa_next_free_vgpr 21
		.amdhsa_next_free_sgpr 30
		.amdhsa_accum_offset 24
		.amdhsa_reserve_vcc 1
		.amdhsa_reserve_flat_scratch 0
		.amdhsa_float_round_mode_32 0
		.amdhsa_float_round_mode_16_64 0
		.amdhsa_float_denorm_mode_32 3
		.amdhsa_float_denorm_mode_16_64 3
		.amdhsa_dx10_clamp 1
		.amdhsa_ieee_mode 1
		.amdhsa_fp16_overflow 0
		.amdhsa_tg_split 0
		.amdhsa_exception_fp_ieee_invalid_op 0
		.amdhsa_exception_fp_denorm_src 0
		.amdhsa_exception_fp_ieee_div_zero 0
		.amdhsa_exception_fp_ieee_overflow 0
		.amdhsa_exception_fp_ieee_underflow 0
		.amdhsa_exception_fp_ieee_inexact 0
		.amdhsa_exception_int_div_zero 0
	.end_amdhsa_kernel
	.section	.text._ZN9rocsolver6v33100L38stedc_mergePrepare_DeflateCount_kernelIdEEviiPT_lS3_Pi,"axG",@progbits,_ZN9rocsolver6v33100L38stedc_mergePrepare_DeflateCount_kernelIdEEviiPT_lS3_Pi,comdat
.Lfunc_end40:
	.size	_ZN9rocsolver6v33100L38stedc_mergePrepare_DeflateCount_kernelIdEEviiPT_lS3_Pi, .Lfunc_end40-_ZN9rocsolver6v33100L38stedc_mergePrepare_DeflateCount_kernelIdEEviiPT_lS3_Pi
                                        ; -- End function
	.section	.AMDGPU.csdata,"",@progbits
; Kernel info:
; codeLenInByte = 1184
; NumSgprs: 34
; NumVgprs: 21
; NumAgprs: 0
; TotalNumVgprs: 21
; ScratchSize: 0
; MemoryBound: 0
; FloatMode: 240
; IeeeMode: 1
; LDSByteSize: 49152 bytes/workgroup (compile time only)
; SGPRBlocks: 4
; VGPRBlocks: 2
; NumSGPRsForWavesPerEU: 34
; NumVGPRsForWavesPerEU: 21
; AccumOffset: 24
; Occupancy: 2
; WaveLimiterHint : 0
; COMPUTE_PGM_RSRC2:SCRATCH_EN: 0
; COMPUTE_PGM_RSRC2:USER_SGPR: 6
; COMPUTE_PGM_RSRC2:TRAP_HANDLER: 0
; COMPUTE_PGM_RSRC2:TGID_X_EN: 1
; COMPUTE_PGM_RSRC2:TGID_Y_EN: 1
; COMPUTE_PGM_RSRC2:TGID_Z_EN: 0
; COMPUTE_PGM_RSRC2:TIDIG_COMP_CNT: 0
; COMPUTE_PGM_RSRC3_GFX90A:ACCUM_OFFSET: 5
; COMPUTE_PGM_RSRC3_GFX90A:TG_SPLIT: 0
	.section	.text._ZN9rocsolver6v33100L38stedc_mergePrepare_DeflateApply_kernelIdEEviiPT_lS3_Pi,"axG",@progbits,_ZN9rocsolver6v33100L38stedc_mergePrepare_DeflateApply_kernelIdEEviiPT_lS3_Pi,comdat
	.globl	_ZN9rocsolver6v33100L38stedc_mergePrepare_DeflateApply_kernelIdEEviiPT_lS3_Pi ; -- Begin function _ZN9rocsolver6v33100L38stedc_mergePrepare_DeflateApply_kernelIdEEviiPT_lS3_Pi
	.p2align	8
	.type	_ZN9rocsolver6v33100L38stedc_mergePrepare_DeflateApply_kernelIdEEviiPT_lS3_Pi,@function
_ZN9rocsolver6v33100L38stedc_mergePrepare_DeflateApply_kernelIdEEviiPT_lS3_Pi: ; @_ZN9rocsolver6v33100L38stedc_mergePrepare_DeflateApply_kernelIdEEviiPT_lS3_Pi
; %bb.0:
	s_load_dword s8, s[4:5], 0x4
	s_load_dwordx4 s[0:3], s[4:5], 0x18
	s_load_dword s16, s[4:5], 0x34
                                        ; implicit-def: $sgpr18
	s_waitcnt lgkmcnt(0)
	s_mul_i32 s17, s7, s8
	s_mul_i32 s4, s17, 13
	s_ashr_i32 s5, s4, 31
	s_lshl_b64 s[10:11], s[4:5], 2
	s_add_u32 s7, s2, s10
	s_addc_u32 s9, s3, s11
	s_lshl_b32 s4, s8, 3
	s_ashr_i32 s5, s4, 31
	s_lshl_b64 s[12:13], s[4:5], 2
	s_add_u32 s14, s7, s12
	s_addc_u32 s20, s9, s13
	s_ashr_i32 s9, s8, 31
	s_lshl_b64 s[4:5], s[8:9], 3
	s_add_u32 s15, s14, s4
	s_addc_u32 s21, s20, s5
	s_and_b32 s19, s16, 0xffff
	s_mul_i32 s16, s6, s19
	v_add_u32_e32 v2, s16, v0
	v_cmp_le_i32_e32 vcc, s8, v2
	v_ashrrev_i32_e32 v3, 31, v2
	s_and_saveexec_b64 s[6:7], vcc
	s_xor_b64 s[6:7], exec, s[6:7]
; %bb.1:
	s_mov_b32 s18, 0
; %bb.2:
	s_or_saveexec_b64 s[6:7], s[6:7]
	v_mov_b32_e32 v16, s18
	s_xor_b64 exec, exec, s[6:7]
	s_cbranch_execz .LBB41_4
; %bb.3:
	s_lshl_b64 s[22:23], s[8:9], 2
	s_sub_u32 s9, s15, s22
	s_subb_u32 s18, s21, s23
	v_lshlrev_b64 v[4:5], 2, v[2:3]
	v_mov_b32_e32 v1, s18
	v_add_co_u32_e32 v4, vcc, s9, v4
	v_addc_co_u32_e32 v5, vcc, v1, v5, vcc
	global_load_dword v16, v[4:5], off
.LBB41_4:
	s_or_b64 exec, exec, s[6:7]
	s_mul_i32 s6, s17, 10
	s_ashr_i32 s7, s6, 31
	s_lshl_b64 s[6:7], s[6:7], 3
	s_add_u32 s17, s0, s6
	s_addc_u32 s18, s1, s7
	s_lshl_b32 s6, s19, 2
	s_add_u32 s0, s4, s10
	s_addc_u32 s1, s5, s11
	s_add_u32 s0, s0, s12
	s_addc_u32 s1, s1, s13
	s_add_u32 s0, s2, s0
	v_lshlrev_b64 v[2:3], 2, v[2:3]
	s_addc_u32 s1, s3, s1
	v_mov_b32_e32 v1, s1
	v_add_co_u32_e32 v2, vcc, s0, v2
	v_lshlrev_b32_e32 v17, 2, v0
	v_addc_co_u32_e32 v3, vcc, v1, v3, vcc
	s_mov_b32 s2, 0
	v_lshlrev_b32_e32 v1, 3, v0
	v_or_b32_e32 v8, 0x8000, v17
	s_lshl_b32 s7, s19, 3
	s_mov_b64 s[0:1], 0
	v_mov_b32_e32 v9, s2
	s_movk_i32 s9, 0xfff
	v_mov_b32_e32 v10, v1
	v_mov_b32_e32 v11, v0
	s_branch .LBB41_6
.LBB41_5:                               ;   in Loop: Header=BB41_6 Depth=1
	s_or_b64 exec, exec, s[2:3]
	v_add_co_u32_e32 v2, vcc, s6, v2
	v_add_u32_e32 v11, s19, v11
	v_addc_co_u32_e32 v3, vcc, v3, v9, vcc
	v_cmp_lt_u32_e32 vcc, s9, v11
	ds_write_b32 v8, v4
	s_waitcnt vmcnt(0)
	ds_write_b64 v10, v[6:7]
	v_add_u32_e32 v8, s6, v8
	s_or_b64 s[0:1], vcc, s[0:1]
	v_add_u32_e32 v10, s7, v10
	s_andn2_b64 exec, exec, s[0:1]
	s_cbranch_execz .LBB41_8
.LBB41_6:                               ; =>This Inner Loop Header: Depth=1
	v_add_u32_e32 v4, s16, v11
	v_cmp_gt_i32_e32 vcc, s8, v4
	v_mov_b32_e32 v4, 0
	v_pk_mov_b32 v[6:7], 0, 0
	s_and_saveexec_b64 s[2:3], vcc
	s_cbranch_execz .LBB41_5
; %bb.7:                                ;   in Loop: Header=BB41_6 Depth=1
	global_load_dword v4, v[2:3], off
	v_mov_b32_e32 v12, s18
	s_waitcnt vmcnt(0)
	v_ashrrev_i32_e32 v5, 31, v4
	v_lshlrev_b64 v[6:7], 3, v[4:5]
	v_add_co_u32_e32 v6, vcc, s17, v6
	v_addc_co_u32_e32 v7, vcc, v12, v7, vcc
	global_load_dwordx2 v[6:7], v[6:7], off
	s_branch .LBB41_5
.LBB41_8:
	s_or_b64 exec, exec, s[0:1]
	v_cmp_ne_u32_e32 vcc, 0, v16
	s_waitcnt lgkmcnt(0)
	s_barrier
	s_and_saveexec_b64 s[0:1], vcc
	s_cbranch_execz .LBB41_24
; %bb.9:
	v_lshlrev_b32_e32 v2, 3, v0
	ds_read_b64 v[2:3], v2
	v_cmp_lt_i32_e32 vcc, 0, v16
	s_and_saveexec_b64 s[2:3], vcc
	s_cbranch_execz .LBB41_23
; %bb.10:
	s_lshl_b32 s0, s8, 1
	s_ashr_i32 s1, s0, 31
	s_lshl_b64 s[0:1], s[0:1], 3
	s_add_u32 s12, s17, s0
	s_addc_u32 s8, s18, s1
	s_add_u32 s13, s12, s4
	s_addc_u32 s9, s8, s5
	v_add_u32_e32 v20, 1, v0
	s_mov_b64 s[0:1], src_shared_base
	s_mov_b32 s6, 0
	v_mov_b32_e32 v0, 0
	v_add_u32_e32 v18, 8, v1
	v_add_u32_e32 v19, 0x8004, v17
	s_mov_b64 s[4:5], 0
	s_movk_i32 s19, 0x1000
	v_mov_b32_e32 v21, s21
	v_mov_b32_e32 v22, s1
	;; [unrolled: 1-line block ×3, first 2 shown]
	s_brev_b32 s7, 8
	v_mov_b32_e32 v24, 0x260
	v_mov_b32_e32 v25, s20
	;; [unrolled: 1-line block ×6, first 2 shown]
	s_branch .LBB41_13
.LBB41_11:                              ;   in Loop: Header=BB41_13 Depth=1
	s_or_b64 exec, exec, s[8:9]
.LBB41_12:                              ;   in Loop: Header=BB41_13 Depth=1
	s_or_b64 exec, exec, s[0:1]
	v_lshlrev_b64 v[8:9], 2, v[8:9]
	v_add_co_u32_e32 v8, vcc, s14, v8
	v_addc_co_u32_e32 v9, vcc, v25, v9, vcc
	global_store_dword v[8:9], v0, off
	global_store_dwordx2 v[6:7], v[0:1], off
	v_add_co_u32_e32 v6, vcc, s12, v4
	v_addc_co_u32_e32 v7, vcc, v26, v5, vcc
	v_add_co_u32_e32 v4, vcc, s13, v4
	v_addc_co_u32_e32 v5, vcc, v27, v5, vcc
	v_add_u32_e32 v16, -1, v16
	v_cmp_eq_u32_e32 vcc, 0, v16
	v_add_u32_e32 v18, 8, v18
	v_add_u32_e32 v19, 4, v19
	s_or_b64 s[4:5], vcc, s[4:5]
	v_add_u32_e32 v20, 1, v20
	global_store_dwordx2 v[6:7], v[14:15], off
	global_store_dwordx2 v[4:5], v[12:13], off
	s_andn2_b64 exec, exec, s[4:5]
	s_cbranch_execz .LBB41_22
.LBB41_13:                              ; =>This Inner Loop Header: Depth=1
	v_add_u32_e32 v4, s16, v20
	v_ashrrev_i32_e32 v5, 31, v4
	v_lshlrev_b64 v[4:5], 2, v[4:5]
	v_add_co_u32_e32 v4, vcc, s15, v4
	v_addc_co_u32_e32 v5, vcc, v21, v5, vcc
	v_cmp_gt_i32_e32 vcc, s19, v20
	v_cndmask_b32_e32 v5, v5, v22, vcc
	v_cndmask_b32_e32 v4, v4, v19, vcc
	flat_load_dword v8, v[4:5]
	v_mov_b32_e32 v14, 0
	v_pk_mov_b32 v[12:13], 0, 0
	v_mov_b32_e32 v15, 0x3ff00000
	s_waitcnt vmcnt(0) lgkmcnt(0)
	v_ashrrev_i32_e32 v9, 31, v8
	v_lshlrev_b64 v[4:5], 3, v[8:9]
	v_add_co_u32_e64 v6, s[0:1], s17, v4
	v_addc_co_u32_e64 v7, s[0:1], v23, v5, s[0:1]
	v_cndmask_b32_e32 v11, v7, v22, vcc
	v_cndmask_b32_e32 v10, v6, v18, vcc
	flat_load_dwordx2 v[10:11], v[10:11]
	s_waitcnt vmcnt(0) lgkmcnt(0)
	v_cmp_neq_f64_e32 vcc, 0, v[10:11]
	s_and_saveexec_b64 s[0:1], vcc
	s_cbranch_execz .LBB41_12
; %bb.14:                               ;   in Loop: Header=BB41_13 Depth=1
	v_cmp_neq_f64_e32 vcc, 0, v[2:3]
                                        ; implicit-def: $vgpr14_vgpr15
                                        ; implicit-def: $vgpr12_vgpr13
	s_and_saveexec_b64 s[8:9], vcc
	s_xor_b64 s[8:9], exec, s[8:9]
	s_cbranch_execz .LBB41_20
; %bb.15:                               ;   in Loop: Header=BB41_13 Depth=1
	v_cmp_ngt_f64_e64 s[10:11], |v[10:11]|, |v[2:3]|
                                        ; implicit-def: $vgpr14_vgpr15
                                        ; implicit-def: $vgpr12_vgpr13
	s_and_saveexec_b64 s[20:21], s[10:11]
	s_xor_b64 s[10:11], exec, s[20:21]
	s_cbranch_execz .LBB41_17
; %bb.16:                               ;   in Loop: Header=BB41_13 Depth=1
	v_div_scale_f64 v[12:13], s[20:21], v[2:3], v[2:3], -v[10:11]
	v_rcp_f64_e32 v[14:15], v[12:13]
	v_div_scale_f64 v[30:31], vcc, -v[10:11], v[2:3], -v[10:11]
	v_fma_f64 v[32:33], -v[12:13], v[14:15], 1.0
	v_fmac_f64_e32 v[14:15], v[14:15], v[32:33]
	v_fma_f64 v[32:33], -v[12:13], v[14:15], 1.0
	v_fmac_f64_e32 v[14:15], v[14:15], v[32:33]
	v_mul_f64 v[32:33], v[30:31], v[14:15]
	v_fma_f64 v[12:13], -v[12:13], v[32:33], v[30:31]
	v_div_fmas_f64 v[12:13], v[12:13], v[14:15], v[32:33]
	v_div_fixup_f64 v[12:13], v[12:13], v[2:3], -v[10:11]
	v_fma_f64 v[14:15], v[12:13], v[12:13], 1.0
	v_cmp_gt_f64_e32 vcc, s[6:7], v[14:15]
	v_cndmask_b32_e64 v29, 0, 1, vcc
	v_lshlrev_b32_e32 v29, 8, v29
	v_ldexp_f64 v[14:15], v[14:15], v29
	v_rsq_f64_e32 v[30:31], v[14:15]
	v_cndmask_b32_e32 v29, 0, v28, vcc
	v_cmp_class_f64_e32 vcc, v[14:15], v24
	v_mul_f64 v[32:33], v[14:15], v[30:31]
	v_mul_f64 v[30:31], v[30:31], 0.5
	v_fma_f64 v[34:35], -v[30:31], v[32:33], 0.5
	v_fmac_f64_e32 v[32:33], v[32:33], v[34:35]
	v_fma_f64 v[36:37], -v[32:33], v[32:33], v[14:15]
	v_fmac_f64_e32 v[30:31], v[30:31], v[34:35]
	v_fmac_f64_e32 v[32:33], v[36:37], v[30:31]
	v_fma_f64 v[34:35], -v[32:33], v[32:33], v[14:15]
	v_fmac_f64_e32 v[32:33], v[34:35], v[30:31]
	v_ldexp_f64 v[30:31], v[32:33], v29
	v_cndmask_b32_e32 v15, v31, v15, vcc
	v_cndmask_b32_e32 v14, v30, v14, vcc
	v_div_scale_f64 v[30:31], s[20:21], v[14:15], v[14:15], 1.0
	v_rcp_f64_e32 v[32:33], v[30:31]
	v_fma_f64 v[34:35], -v[30:31], v[32:33], 1.0
	v_fmac_f64_e32 v[32:33], v[32:33], v[34:35]
	v_fma_f64 v[34:35], -v[30:31], v[32:33], 1.0
	v_fmac_f64_e32 v[32:33], v[32:33], v[34:35]
	v_div_scale_f64 v[34:35], vcc, 1.0, v[14:15], 1.0
	v_mul_f64 v[36:37], v[34:35], v[32:33]
	v_fma_f64 v[30:31], -v[30:31], v[36:37], v[34:35]
	s_nop 1
	v_div_fmas_f64 v[30:31], v[30:31], v[32:33], v[36:37]
	v_div_fixup_f64 v[14:15], v[30:31], v[14:15], 1.0
	v_mul_f64 v[12:13], v[12:13], v[14:15]
.LBB41_17:                              ;   in Loop: Header=BB41_13 Depth=1
	s_andn2_saveexec_b64 s[10:11], s[10:11]
	s_cbranch_execz .LBB41_19
; %bb.18:                               ;   in Loop: Header=BB41_13 Depth=1
	v_div_scale_f64 v[12:13], s[20:21], v[10:11], v[10:11], -v[2:3]
	v_rcp_f64_e32 v[14:15], v[12:13]
	v_div_scale_f64 v[30:31], vcc, -v[2:3], v[10:11], -v[2:3]
	v_fma_f64 v[32:33], -v[12:13], v[14:15], 1.0
	v_fmac_f64_e32 v[14:15], v[14:15], v[32:33]
	v_fma_f64 v[32:33], -v[12:13], v[14:15], 1.0
	v_fmac_f64_e32 v[14:15], v[14:15], v[32:33]
	v_mul_f64 v[32:33], v[30:31], v[14:15]
	v_fma_f64 v[12:13], -v[12:13], v[32:33], v[30:31]
	v_div_fmas_f64 v[12:13], v[12:13], v[14:15], v[32:33]
	v_div_fixup_f64 v[14:15], v[12:13], v[10:11], -v[2:3]
	v_fma_f64 v[12:13], v[14:15], v[14:15], 1.0
	v_cmp_gt_f64_e32 vcc, s[6:7], v[12:13]
	v_cndmask_b32_e64 v29, 0, 1, vcc
	v_lshlrev_b32_e32 v29, 8, v29
	v_ldexp_f64 v[12:13], v[12:13], v29
	v_rsq_f64_e32 v[30:31], v[12:13]
	v_cndmask_b32_e32 v29, 0, v28, vcc
	v_cmp_class_f64_e32 vcc, v[12:13], v24
	v_mul_f64 v[32:33], v[12:13], v[30:31]
	v_mul_f64 v[30:31], v[30:31], 0.5
	v_fma_f64 v[34:35], -v[30:31], v[32:33], 0.5
	v_fmac_f64_e32 v[32:33], v[32:33], v[34:35]
	v_fma_f64 v[36:37], -v[32:33], v[32:33], v[12:13]
	v_fmac_f64_e32 v[30:31], v[30:31], v[34:35]
	v_fmac_f64_e32 v[32:33], v[36:37], v[30:31]
	v_fma_f64 v[34:35], -v[32:33], v[32:33], v[12:13]
	v_fmac_f64_e32 v[32:33], v[34:35], v[30:31]
	v_ldexp_f64 v[30:31], v[32:33], v29
	v_cndmask_b32_e32 v13, v31, v13, vcc
	v_cndmask_b32_e32 v12, v30, v12, vcc
	v_div_scale_f64 v[30:31], s[20:21], v[12:13], v[12:13], 1.0
	v_rcp_f64_e32 v[32:33], v[30:31]
	v_fma_f64 v[34:35], -v[30:31], v[32:33], 1.0
	v_fmac_f64_e32 v[32:33], v[32:33], v[34:35]
	v_fma_f64 v[34:35], -v[30:31], v[32:33], 1.0
	v_fmac_f64_e32 v[32:33], v[32:33], v[34:35]
	v_div_scale_f64 v[34:35], vcc, 1.0, v[12:13], 1.0
	v_mul_f64 v[36:37], v[34:35], v[32:33]
	v_fma_f64 v[30:31], -v[30:31], v[36:37], v[34:35]
	s_nop 1
	v_div_fmas_f64 v[30:31], v[30:31], v[32:33], v[36:37]
	v_div_fixup_f64 v[12:13], v[30:31], v[12:13], 1.0
	v_mul_f64 v[14:15], v[14:15], v[12:13]
.LBB41_19:                              ;   in Loop: Header=BB41_13 Depth=1
	s_or_b64 exec, exec, s[10:11]
	v_mul_f64 v[10:11], v[10:11], v[12:13]
	v_fma_f64 v[2:3], v[2:3], v[14:15], -v[10:11]
                                        ; implicit-def: $vgpr10_vgpr11
.LBB41_20:                              ;   in Loop: Header=BB41_13 Depth=1
	s_andn2_saveexec_b64 s[8:9], s[8:9]
	s_cbranch_execz .LBB41_11
; %bb.21:                               ;   in Loop: Header=BB41_13 Depth=1
	v_xor_b32_e32 v11, 0x80000000, v11
	v_mov_b32_e32 v12, 0
	v_pk_mov_b32 v[14:15], 0, 0
	v_mov_b32_e32 v13, 0x3ff00000
	v_pk_mov_b32 v[2:3], v[10:11], v[10:11] op_sel:[0,1]
	s_branch .LBB41_11
.LBB41_22:
	s_or_b64 exec, exec, s[4:5]
.LBB41_23:
	s_or_b64 exec, exec, s[2:3]
	ds_read_b32 v0, v17 offset:32768
	v_mov_b32_e32 v4, s18
	s_waitcnt lgkmcnt(0)
	v_ashrrev_i32_e32 v1, 31, v0
	v_lshlrev_b64 v[0:1], 3, v[0:1]
	v_add_co_u32_e32 v0, vcc, s17, v0
	v_addc_co_u32_e32 v1, vcc, v4, v1, vcc
	global_store_dwordx2 v[0:1], v[2:3], off
.LBB41_24:
	s_endpgm
	.section	.rodata,"a",@progbits
	.p2align	6, 0x0
	.amdhsa_kernel _ZN9rocsolver6v33100L38stedc_mergePrepare_DeflateApply_kernelIdEEviiPT_lS3_Pi
		.amdhsa_group_segment_fixed_size 49152
		.amdhsa_private_segment_fixed_size 0
		.amdhsa_kernarg_size 296
		.amdhsa_user_sgpr_count 6
		.amdhsa_user_sgpr_private_segment_buffer 1
		.amdhsa_user_sgpr_dispatch_ptr 0
		.amdhsa_user_sgpr_queue_ptr 0
		.amdhsa_user_sgpr_kernarg_segment_ptr 1
		.amdhsa_user_sgpr_dispatch_id 0
		.amdhsa_user_sgpr_flat_scratch_init 0
		.amdhsa_user_sgpr_kernarg_preload_length 0
		.amdhsa_user_sgpr_kernarg_preload_offset 0
		.amdhsa_user_sgpr_private_segment_size 0
		.amdhsa_uses_dynamic_stack 0
		.amdhsa_system_sgpr_private_segment_wavefront_offset 0
		.amdhsa_system_sgpr_workgroup_id_x 1
		.amdhsa_system_sgpr_workgroup_id_y 1
		.amdhsa_system_sgpr_workgroup_id_z 0
		.amdhsa_system_sgpr_workgroup_info 0
		.amdhsa_system_vgpr_workitem_id 0
		.amdhsa_next_free_vgpr 38
		.amdhsa_next_free_sgpr 24
		.amdhsa_accum_offset 40
		.amdhsa_reserve_vcc 1
		.amdhsa_reserve_flat_scratch 0
		.amdhsa_float_round_mode_32 0
		.amdhsa_float_round_mode_16_64 0
		.amdhsa_float_denorm_mode_32 3
		.amdhsa_float_denorm_mode_16_64 3
		.amdhsa_dx10_clamp 1
		.amdhsa_ieee_mode 1
		.amdhsa_fp16_overflow 0
		.amdhsa_tg_split 0
		.amdhsa_exception_fp_ieee_invalid_op 0
		.amdhsa_exception_fp_denorm_src 0
		.amdhsa_exception_fp_ieee_div_zero 0
		.amdhsa_exception_fp_ieee_overflow 0
		.amdhsa_exception_fp_ieee_underflow 0
		.amdhsa_exception_fp_ieee_inexact 0
		.amdhsa_exception_int_div_zero 0
	.end_amdhsa_kernel
	.section	.text._ZN9rocsolver6v33100L38stedc_mergePrepare_DeflateApply_kernelIdEEviiPT_lS3_Pi,"axG",@progbits,_ZN9rocsolver6v33100L38stedc_mergePrepare_DeflateApply_kernelIdEEviiPT_lS3_Pi,comdat
.Lfunc_end41:
	.size	_ZN9rocsolver6v33100L38stedc_mergePrepare_DeflateApply_kernelIdEEviiPT_lS3_Pi, .Lfunc_end41-_ZN9rocsolver6v33100L38stedc_mergePrepare_DeflateApply_kernelIdEEviiPT_lS3_Pi
                                        ; -- End function
	.section	.AMDGPU.csdata,"",@progbits
; Kernel info:
; codeLenInByte = 1560
; NumSgprs: 28
; NumVgprs: 38
; NumAgprs: 0
; TotalNumVgprs: 38
; ScratchSize: 0
; MemoryBound: 0
; FloatMode: 240
; IeeeMode: 1
; LDSByteSize: 49152 bytes/workgroup (compile time only)
; SGPRBlocks: 3
; VGPRBlocks: 4
; NumSGPRsForWavesPerEU: 28
; NumVGPRsForWavesPerEU: 38
; AccumOffset: 40
; Occupancy: 2
; WaveLimiterHint : 1
; COMPUTE_PGM_RSRC2:SCRATCH_EN: 0
; COMPUTE_PGM_RSRC2:USER_SGPR: 6
; COMPUTE_PGM_RSRC2:TRAP_HANDLER: 0
; COMPUTE_PGM_RSRC2:TGID_X_EN: 1
; COMPUTE_PGM_RSRC2:TGID_Y_EN: 1
; COMPUTE_PGM_RSRC2:TGID_Z_EN: 0
; COMPUTE_PGM_RSRC2:TIDIG_COMP_CNT: 0
; COMPUTE_PGM_RSRC3_GFX90A:ACCUM_OFFSET: 9
; COMPUTE_PGM_RSRC3_GFX90A:TG_SPLIT: 0
	.section	.text._ZN9rocsolver6v33100L24stedc_mergeRotate_kernelIdEEviiPT_iilS3_Pi,"axG",@progbits,_ZN9rocsolver6v33100L24stedc_mergeRotate_kernelIdEEviiPT_iilS3_Pi,comdat
	.globl	_ZN9rocsolver6v33100L24stedc_mergeRotate_kernelIdEEviiPT_iilS3_Pi ; -- Begin function _ZN9rocsolver6v33100L24stedc_mergeRotate_kernelIdEEviiPT_iilS3_Pi
	.p2align	8
	.type	_ZN9rocsolver6v33100L24stedc_mergeRotate_kernelIdEEviiPT_iilS3_Pi,@function
_ZN9rocsolver6v33100L24stedc_mergeRotate_kernelIdEEviiPT_iilS3_Pi: ; @_ZN9rocsolver6v33100L24stedc_mergeRotate_kernelIdEEviiPT_iilS3_Pi
; %bb.0:
	s_load_dword s34, s[4:5], 0x4
	s_load_dwordx2 s[2:3], s[4:5], 0x28
	s_load_dword s1, s[4:5], 0x3c
	s_mov_b32 s0, s6
	s_waitcnt lgkmcnt(0)
	s_mul_i32 s6, s7, s34
	s_mul_i32 s8, s6, 13
	s_ashr_i32 s9, s8, 31
	s_lshl_b64 s[8:9], s[8:9], 2
	s_add_u32 s6, s2, s8
	s_mul_i32 s2, s34, 10
	s_addc_u32 s10, s3, s9
	s_ashr_i32 s3, s2, 31
	s_lshl_b64 s[8:9], s[2:3], 2
	s_add_u32 s3, s6, s8
	s_addc_u32 s6, s10, s9
	s_ashr_i32 s35, s34, 31
	s_lshl_b64 s[8:9], s[34:35], 2
	s_sub_u32 s8, s3, s8
	s_subb_u32 s9, s6, s9
	s_and_b32 s33, s1, 0xffff
	s_lshl_b32 s46, s33, 4
	v_cvt_f32_u32_e32 v1, s46
	s_ashr_i32 s1, s0, 31
	s_lshl_b64 s[0:1], s[0:1], 2
	s_add_u32 s8, s8, s0
	v_rcp_iflag_f32_e32 v1, v1
	s_addc_u32 s9, s9, s1
	s_load_dword s47, s[8:9], 0x0
	v_mul_f32_e32 v1, 0x4f7ffffe, v1
	v_cvt_u32_f32_e32 v1, v1
	s_waitcnt lgkmcnt(0)
	s_cmp_eq_u32 s47, 0
	v_readfirstlane_b32 s8, v1
	s_cbranch_scc1 .LBB42_136
; %bb.1:
	s_sub_i32 s11, 0, s46
	s_mul_i32 s11, s11, s8
	s_add_i32 s9, s34, -1
	s_mul_hi_u32 s11, s8, s11
	s_ashr_i32 s10, s9, 31
	s_abs_i32 s9, s9
	s_add_i32 s8, s8, s11
	s_mul_hi_u32 s8, s9, s8
	s_mul_i32 s11, s8, s46
	s_sub_i32 s9, s9, s11
	s_add_i32 s11, s8, 1
	s_sub_i32 s12, s9, s46
	s_cmp_ge_u32 s9, s46
	s_cselect_b32 s8, s11, s8
	s_cselect_b32 s9, s12, s9
	s_add_i32 s11, s8, 1
	s_cmp_ge_u32 s9, s46
	s_cselect_b32 s8, s11, s8
	s_xor_b32 s8, s8, s10
	s_sub_i32 s48, s8, s10
	s_cmp_lt_i32 s48, 0
	s_cbranch_scc1 .LBB42_136
; %bb.2:
	s_load_dwordx8 s[36:43], s[4:5], 0x8
	s_ashr_i32 s8, s7, 31
	s_mul_i32 s2, s2, s7
	s_mov_b32 s55, 0
                                        ; implicit-def: $vgpr34_vgpr35_vgpr36_vgpr37_vgpr38_vgpr39_vgpr40_vgpr41_vgpr42_vgpr43_vgpr44_vgpr45_vgpr46_vgpr47_vgpr48_vgpr49_vgpr50_vgpr51_vgpr52_vgpr53_vgpr54_vgpr55_vgpr56_vgpr57_vgpr58_vgpr59_vgpr60_vgpr61_vgpr62_vgpr63_vgpr64_vgpr65
                                        ; implicit-def: $vgpr2_vgpr3_vgpr4_vgpr5_vgpr6_vgpr7_vgpr8_vgpr9_vgpr10_vgpr11_vgpr12_vgpr13_vgpr14_vgpr15_vgpr16_vgpr17_vgpr18_vgpr19_vgpr20_vgpr21_vgpr22_vgpr23_vgpr24_vgpr25_vgpr26_vgpr27_vgpr28_vgpr29_vgpr30_vgpr31_vgpr32_vgpr33
	s_waitcnt lgkmcnt(0)
	s_mul_i32 s9, s7, s41
	s_mul_hi_u32 s10, s7, s40
	s_add_i32 s9, s10, s9
	s_mul_i32 s8, s8, s40
	s_add_i32 s9, s9, s8
	s_mul_i32 s8, s7, s40
	s_ashr_i32 s5, s38, 31
	s_lshl_b64 s[8:9], s[8:9], 3
	s_mov_b32 s4, s38
	s_add_u32 s8, s36, s8
	s_addc_u32 s9, s37, s9
	s_lshl_b64 s[4:5], s[4:5], 3
	s_add_u32 s38, s8, s4
	s_addc_u32 s49, s9, s5
	s_add_u32 s0, s3, s0
	s_addc_u32 s1, s6, s1
	s_load_dword s3, s[0:1], 0x0
	s_waitcnt lgkmcnt(0)
	s_mul_i32 s4, s3, s39
	s_ashr_i32 s5, s4, 31
	s_lshl_b64 s[4:5], s[4:5], 3
	s_add_u32 s50, s38, s4
	s_addc_u32 s51, s49, s5
	s_ashr_i32 s3, s2, 31
	s_lshl_b64 s[2:3], s[2:3], 3
	s_add_u32 s4, s42, s2
	s_addc_u32 s5, s43, s3
	s_lshl_b32 s2, s34, 1
	s_ashr_i32 s3, s2, 31
	s_lshl_b64 s[2:3], s[2:3], 3
	s_add_u32 s52, s4, s2
	s_addc_u32 s53, s5, s3
	s_lshl_b64 s[2:3], s[34:35], 3
	s_add_u32 s35, s52, s2
	s_addc_u32 s54, s53, s3
	s_cmp_gt_i32 s47, 0
	s_cselect_b64 s[36:37], -1, 0
	s_add_u32 s40, s0, 4
	s_addc_u32 s41, s1, 0
	s_branch .LBB42_4
.LBB42_3:                               ;   in Loop: Header=BB42_4 Depth=1
	s_or_b64 exec, exec, s[0:1]
	s_add_i32 s0, s55, 1
	s_cmp_lg_u32 s55, s48
	s_mov_b32 s55, s0
	s_cbranch_scc0 .LBB42_136
.LBB42_4:                               ; =>This Loop Header: Depth=1
                                        ;     Child Loop BB42_39 Depth 2
	s_mul_i32 s0, s55, s46
	v_add_u32_e32 v98, s0, v0
	v_cmp_gt_i32_e64 s[0:1], s34, v98
	v_ashrrev_i32_e32 v99, 31, v98
	s_and_saveexec_b64 s[2:3], s[0:1]
	s_cbranch_execz .LBB42_6
; %bb.5:                                ;   in Loop: Header=BB42_4 Depth=1
	s_waitcnt vmcnt(0)
	v_lshlrev_b64 v[2:3], 3, v[98:99]
	v_mov_b32_e32 v1, s51
	v_add_co_u32_e32 v2, vcc, s50, v2
	v_addc_co_u32_e32 v3, vcc, v1, v3, vcc
	global_load_dwordx2 v[2:3], v[2:3], off
.LBB42_6:                               ;   in Loop: Header=BB42_4 Depth=1
	s_or_b64 exec, exec, s[2:3]
	v_add_u32_e32 v100, s33, v98
	v_cmp_gt_i32_e64 s[2:3], s34, v100
	v_ashrrev_i32_e32 v101, 31, v100
	s_and_saveexec_b64 s[4:5], s[2:3]
	s_cbranch_execz .LBB42_8
; %bb.7:                                ;   in Loop: Header=BB42_4 Depth=1
	s_waitcnt vmcnt(0)
	v_lshlrev_b64 v[4:5], 3, v[100:101]
	v_mov_b32_e32 v1, s51
	v_add_co_u32_e32 v4, vcc, s50, v4
	v_addc_co_u32_e32 v5, vcc, v1, v5, vcc
	global_load_dwordx2 v[4:5], v[4:5], off
.LBB42_8:                               ;   in Loop: Header=BB42_4 Depth=1
	s_or_b64 exec, exec, s[4:5]
	v_add_u32_e32 v102, s33, v100
	v_cmp_gt_i32_e64 s[4:5], s34, v102
	v_ashrrev_i32_e32 v103, 31, v102
	s_and_saveexec_b64 s[6:7], s[4:5]
	s_cbranch_execz .LBB42_10
; %bb.9:                                ;   in Loop: Header=BB42_4 Depth=1
	s_waitcnt vmcnt(0)
	v_lshlrev_b64 v[6:7], 3, v[102:103]
	v_mov_b32_e32 v1, s51
	v_add_co_u32_e32 v6, vcc, s50, v6
	v_addc_co_u32_e32 v7, vcc, v1, v7, vcc
	global_load_dwordx2 v[6:7], v[6:7], off
.LBB42_10:                              ;   in Loop: Header=BB42_4 Depth=1
	s_or_b64 exec, exec, s[6:7]
	v_add_u32_e32 v104, s33, v102
	v_cmp_gt_i32_e64 s[6:7], s34, v104
	v_ashrrev_i32_e32 v105, 31, v104
	s_and_saveexec_b64 s[8:9], s[6:7]
	s_cbranch_execz .LBB42_12
; %bb.11:                               ;   in Loop: Header=BB42_4 Depth=1
	s_waitcnt vmcnt(0)
	v_lshlrev_b64 v[8:9], 3, v[104:105]
	v_mov_b32_e32 v1, s51
	v_add_co_u32_e32 v8, vcc, s50, v8
	v_addc_co_u32_e32 v9, vcc, v1, v9, vcc
	global_load_dwordx2 v[8:9], v[8:9], off
.LBB42_12:                              ;   in Loop: Header=BB42_4 Depth=1
	s_or_b64 exec, exec, s[8:9]
	v_add_u32_e32 v106, s33, v104
	v_cmp_gt_i32_e64 s[8:9], s34, v106
	v_ashrrev_i32_e32 v107, 31, v106
	s_and_saveexec_b64 s[10:11], s[8:9]
	s_cbranch_execz .LBB42_14
; %bb.13:                               ;   in Loop: Header=BB42_4 Depth=1
	s_waitcnt vmcnt(0)
	v_lshlrev_b64 v[10:11], 3, v[106:107]
	v_mov_b32_e32 v1, s51
	v_add_co_u32_e32 v10, vcc, s50, v10
	v_addc_co_u32_e32 v11, vcc, v1, v11, vcc
	global_load_dwordx2 v[10:11], v[10:11], off
.LBB42_14:                              ;   in Loop: Header=BB42_4 Depth=1
	;; [unrolled: 14-line block ×13, first 2 shown]
	s_or_b64 exec, exec, s[42:43]
	s_and_b64 vcc, exec, s[36:37]
	s_cbranch_vccz .LBB42_104
; %bb.37:                               ;   in Loop: Header=BB42_4 Depth=1
	v_lshlrev_b64 v[130:131], 3, v[98:99]
	v_lshlrev_b64 v[132:133], 3, v[100:101]
	;; [unrolled: 1-line block ×16, first 2 shown]
	s_mov_b32 s56, s47
	s_mov_b64 s[42:43], s[40:41]
	s_branch .LBB42_39
.LBB42_38:                              ;   in Loop: Header=BB42_39 Depth=2
	s_or_b64 exec, exec, s[44:45]
	v_mul_f64 v[34:35], v[164:165], v[34:35]
	v_fma_f64 v[2:3], v[162:163], v[2:3], -v[34:35]
	v_mul_f64 v[34:35], v[164:165], v[36:37]
	v_fma_f64 v[4:5], v[162:163], v[4:5], -v[34:35]
	;; [unrolled: 2-line block ×15, first 2 shown]
	v_mul_f64 v[34:35], v[164:165], v[64:65]
	s_add_u32 s42, s42, 4
	v_fma_f64 v[32:33], v[162:163], v[32:33], -v[34:35]
	s_addc_u32 s43, s43, 0
	s_add_i32 s56, s56, -1
	v_pk_mov_b32 v[34:35], v[66:67], v[66:67] op_sel:[0,1]
	s_cmp_eq_u32 s56, 0
	v_pk_mov_b32 v[36:37], v[68:69], v[68:69] op_sel:[0,1]
	v_pk_mov_b32 v[38:39], v[70:71], v[70:71] op_sel:[0,1]
	;; [unrolled: 1-line block ×15, first 2 shown]
	s_barrier
	s_cbranch_scc1 .LBB42_103
.LBB42_39:                              ;   Parent Loop BB42_4 Depth=1
                                        ; =>  This Inner Loop Header: Depth=2
	v_mov_b32_e32 v1, 0
	global_load_dword v66, v1, s[42:43]
	v_mov_b32_e32 v1, s53
	v_mov_b32_e32 v72, s54
	s_waitcnt vmcnt(0)
	v_ashrrev_i32_e32 v67, 31, v66
	v_lshlrev_b64 v[68:69], 3, v[66:67]
	v_add_co_u32_e32 v70, vcc, s52, v68
	v_addc_co_u32_e32 v71, vcc, v1, v69, vcc
	v_add_co_u32_e32 v68, vcc, s35, v68
	v_addc_co_u32_e32 v69, vcc, v72, v69, vcc
	global_load_dwordx2 v[162:163], v[70:71], off
	global_load_dwordx2 v[164:165], v[68:69], off
	v_readfirstlane_b32 s44, v66
	s_mul_i32 s44, s44, s39
	s_ashr_i32 s45, s44, 31
	s_lshl_b64 s[44:45], s[44:45], 3
	s_add_u32 s57, s38, s44
	s_addc_u32 s58, s49, s45
	s_and_saveexec_b64 s[44:45], s[0:1]
	s_cbranch_execnz .LBB42_88
; %bb.40:                               ;   in Loop: Header=BB42_39 Depth=2
	s_or_b64 exec, exec, s[44:45]
	s_and_saveexec_b64 s[44:45], s[2:3]
	s_cbranch_execnz .LBB42_89
.LBB42_41:                              ;   in Loop: Header=BB42_39 Depth=2
	s_or_b64 exec, exec, s[44:45]
	s_and_saveexec_b64 s[44:45], s[4:5]
	s_cbranch_execnz .LBB42_90
.LBB42_42:                              ;   in Loop: Header=BB42_39 Depth=2
	s_or_b64 exec, exec, s[44:45]
	s_and_saveexec_b64 s[44:45], s[6:7]
	s_cbranch_execnz .LBB42_91
.LBB42_43:                              ;   in Loop: Header=BB42_39 Depth=2
	s_or_b64 exec, exec, s[44:45]
	s_and_saveexec_b64 s[44:45], s[8:9]
	s_cbranch_execnz .LBB42_92
.LBB42_44:                              ;   in Loop: Header=BB42_39 Depth=2
	s_or_b64 exec, exec, s[44:45]
	s_and_saveexec_b64 s[44:45], s[10:11]
	s_cbranch_execnz .LBB42_93
.LBB42_45:                              ;   in Loop: Header=BB42_39 Depth=2
	s_or_b64 exec, exec, s[44:45]
	s_and_saveexec_b64 s[44:45], s[12:13]
	s_cbranch_execnz .LBB42_94
.LBB42_46:                              ;   in Loop: Header=BB42_39 Depth=2
	s_or_b64 exec, exec, s[44:45]
	s_and_saveexec_b64 s[44:45], s[14:15]
	s_cbranch_execnz .LBB42_95
.LBB42_47:                              ;   in Loop: Header=BB42_39 Depth=2
	s_or_b64 exec, exec, s[44:45]
	s_and_saveexec_b64 s[44:45], s[16:17]
	s_cbranch_execnz .LBB42_96
.LBB42_48:                              ;   in Loop: Header=BB42_39 Depth=2
	s_or_b64 exec, exec, s[44:45]
	s_and_saveexec_b64 s[44:45], s[18:19]
	s_cbranch_execnz .LBB42_97
.LBB42_49:                              ;   in Loop: Header=BB42_39 Depth=2
	s_or_b64 exec, exec, s[44:45]
	s_and_saveexec_b64 s[44:45], s[20:21]
	s_cbranch_execnz .LBB42_98
.LBB42_50:                              ;   in Loop: Header=BB42_39 Depth=2
	s_or_b64 exec, exec, s[44:45]
	s_and_saveexec_b64 s[44:45], s[22:23]
	s_cbranch_execnz .LBB42_99
.LBB42_51:                              ;   in Loop: Header=BB42_39 Depth=2
	s_or_b64 exec, exec, s[44:45]
	s_and_saveexec_b64 s[44:45], s[24:25]
	s_cbranch_execnz .LBB42_100
.LBB42_52:                              ;   in Loop: Header=BB42_39 Depth=2
	s_or_b64 exec, exec, s[44:45]
	s_and_saveexec_b64 s[44:45], s[26:27]
	s_cbranch_execnz .LBB42_101
.LBB42_53:                              ;   in Loop: Header=BB42_39 Depth=2
	s_or_b64 exec, exec, s[44:45]
	s_and_saveexec_b64 s[44:45], s[28:29]
	s_cbranch_execnz .LBB42_102
.LBB42_54:                              ;   in Loop: Header=BB42_39 Depth=2
	s_or_b64 exec, exec, s[44:45]
	s_and_saveexec_b64 s[44:45], s[30:31]
	s_cbranch_execz .LBB42_56
.LBB42_55:                              ;   in Loop: Header=BB42_39 Depth=2
	v_mov_b32_e32 v1, s58
	v_add_co_u32_e32 v64, vcc, s57, v160
	v_addc_co_u32_e32 v65, vcc, v1, v161, vcc
	global_load_dwordx2 v[64:65], v[64:65], off
.LBB42_56:                              ;   in Loop: Header=BB42_39 Depth=2
	s_or_b64 exec, exec, s[44:45]
	s_waitcnt vmcnt(0)
	v_mul_f64 v[66:67], v[162:163], v[34:35]
	v_fmac_f64_e32 v[66:67], v[164:165], v[2:3]
	s_and_saveexec_b64 s[44:45], s[0:1]
	s_cbranch_execz .LBB42_58
; %bb.57:                               ;   in Loop: Header=BB42_39 Depth=2
	v_mov_b32_e32 v1, s58
	v_add_co_u32_e32 v68, vcc, s57, v130
	v_addc_co_u32_e32 v69, vcc, v1, v131, vcc
	global_store_dwordx2 v[68:69], v[66:67], off
.LBB42_58:                              ;   in Loop: Header=BB42_39 Depth=2
	s_or_b64 exec, exec, s[44:45]
	v_mul_f64 v[68:69], v[162:163], v[36:37]
	v_fmac_f64_e32 v[68:69], v[164:165], v[4:5]
	s_and_saveexec_b64 s[44:45], s[2:3]
	s_cbranch_execz .LBB42_60
; %bb.59:                               ;   in Loop: Header=BB42_39 Depth=2
	v_mov_b32_e32 v1, s58
	v_add_co_u32_e32 v70, vcc, s57, v132
	v_addc_co_u32_e32 v71, vcc, v1, v133, vcc
	global_store_dwordx2 v[70:71], v[68:69], off
.LBB42_60:                              ;   in Loop: Header=BB42_39 Depth=2
	s_or_b64 exec, exec, s[44:45]
	;; [unrolled: 11-line block ×15, first 2 shown]
	v_mul_f64 v[96:97], v[162:163], v[64:65]
	v_fmac_f64_e32 v[96:97], v[164:165], v[32:33]
	s_and_saveexec_b64 s[44:45], s[30:31]
	s_cbranch_execz .LBB42_38
; %bb.87:                               ;   in Loop: Header=BB42_39 Depth=2
	v_mov_b32_e32 v1, s58
	v_add_co_u32_e32 v166, vcc, s57, v160
	v_addc_co_u32_e32 v167, vcc, v1, v161, vcc
	global_store_dwordx2 v[166:167], v[96:97], off
	s_branch .LBB42_38
.LBB42_88:                              ;   in Loop: Header=BB42_39 Depth=2
	v_mov_b32_e32 v1, s58
	v_add_co_u32_e32 v34, vcc, s57, v130
	v_addc_co_u32_e32 v35, vcc, v1, v131, vcc
	global_load_dwordx2 v[34:35], v[34:35], off
	s_or_b64 exec, exec, s[44:45]
	s_and_saveexec_b64 s[44:45], s[2:3]
	s_cbranch_execz .LBB42_41
.LBB42_89:                              ;   in Loop: Header=BB42_39 Depth=2
	v_mov_b32_e32 v1, s58
	v_add_co_u32_e32 v36, vcc, s57, v132
	v_addc_co_u32_e32 v37, vcc, v1, v133, vcc
	global_load_dwordx2 v[36:37], v[36:37], off
	s_or_b64 exec, exec, s[44:45]
	s_and_saveexec_b64 s[44:45], s[4:5]
	s_cbranch_execz .LBB42_42
.LBB42_90:                              ;   in Loop: Header=BB42_39 Depth=2
	v_mov_b32_e32 v1, s58
	v_add_co_u32_e32 v38, vcc, s57, v134
	v_addc_co_u32_e32 v39, vcc, v1, v135, vcc
	global_load_dwordx2 v[38:39], v[38:39], off
	s_or_b64 exec, exec, s[44:45]
	s_and_saveexec_b64 s[44:45], s[6:7]
	s_cbranch_execz .LBB42_43
.LBB42_91:                              ;   in Loop: Header=BB42_39 Depth=2
	v_mov_b32_e32 v1, s58
	v_add_co_u32_e32 v40, vcc, s57, v136
	v_addc_co_u32_e32 v41, vcc, v1, v137, vcc
	global_load_dwordx2 v[40:41], v[40:41], off
	s_or_b64 exec, exec, s[44:45]
	s_and_saveexec_b64 s[44:45], s[8:9]
	s_cbranch_execz .LBB42_44
.LBB42_92:                              ;   in Loop: Header=BB42_39 Depth=2
	v_mov_b32_e32 v1, s58
	v_add_co_u32_e32 v42, vcc, s57, v138
	v_addc_co_u32_e32 v43, vcc, v1, v139, vcc
	global_load_dwordx2 v[42:43], v[42:43], off
	s_or_b64 exec, exec, s[44:45]
	s_and_saveexec_b64 s[44:45], s[10:11]
	s_cbranch_execz .LBB42_45
.LBB42_93:                              ;   in Loop: Header=BB42_39 Depth=2
	v_mov_b32_e32 v1, s58
	v_add_co_u32_e32 v44, vcc, s57, v140
	v_addc_co_u32_e32 v45, vcc, v1, v141, vcc
	global_load_dwordx2 v[44:45], v[44:45], off
	s_or_b64 exec, exec, s[44:45]
	s_and_saveexec_b64 s[44:45], s[12:13]
	s_cbranch_execz .LBB42_46
.LBB42_94:                              ;   in Loop: Header=BB42_39 Depth=2
	v_mov_b32_e32 v1, s58
	v_add_co_u32_e32 v46, vcc, s57, v142
	v_addc_co_u32_e32 v47, vcc, v1, v143, vcc
	global_load_dwordx2 v[46:47], v[46:47], off
	s_or_b64 exec, exec, s[44:45]
	s_and_saveexec_b64 s[44:45], s[14:15]
	s_cbranch_execz .LBB42_47
.LBB42_95:                              ;   in Loop: Header=BB42_39 Depth=2
	v_mov_b32_e32 v1, s58
	v_add_co_u32_e32 v48, vcc, s57, v144
	v_addc_co_u32_e32 v49, vcc, v1, v145, vcc
	global_load_dwordx2 v[48:49], v[48:49], off
	s_or_b64 exec, exec, s[44:45]
	s_and_saveexec_b64 s[44:45], s[16:17]
	s_cbranch_execz .LBB42_48
.LBB42_96:                              ;   in Loop: Header=BB42_39 Depth=2
	v_mov_b32_e32 v1, s58
	v_add_co_u32_e32 v50, vcc, s57, v146
	v_addc_co_u32_e32 v51, vcc, v1, v147, vcc
	global_load_dwordx2 v[50:51], v[50:51], off
	s_or_b64 exec, exec, s[44:45]
	s_and_saveexec_b64 s[44:45], s[18:19]
	s_cbranch_execz .LBB42_49
.LBB42_97:                              ;   in Loop: Header=BB42_39 Depth=2
	v_mov_b32_e32 v1, s58
	v_add_co_u32_e32 v52, vcc, s57, v148
	v_addc_co_u32_e32 v53, vcc, v1, v149, vcc
	global_load_dwordx2 v[52:53], v[52:53], off
	s_or_b64 exec, exec, s[44:45]
	s_and_saveexec_b64 s[44:45], s[20:21]
	s_cbranch_execz .LBB42_50
.LBB42_98:                              ;   in Loop: Header=BB42_39 Depth=2
	v_mov_b32_e32 v1, s58
	v_add_co_u32_e32 v54, vcc, s57, v150
	v_addc_co_u32_e32 v55, vcc, v1, v151, vcc
	global_load_dwordx2 v[54:55], v[54:55], off
	s_or_b64 exec, exec, s[44:45]
	s_and_saveexec_b64 s[44:45], s[22:23]
	s_cbranch_execz .LBB42_51
.LBB42_99:                              ;   in Loop: Header=BB42_39 Depth=2
	v_mov_b32_e32 v1, s58
	v_add_co_u32_e32 v56, vcc, s57, v152
	v_addc_co_u32_e32 v57, vcc, v1, v153, vcc
	global_load_dwordx2 v[56:57], v[56:57], off
	s_or_b64 exec, exec, s[44:45]
	s_and_saveexec_b64 s[44:45], s[24:25]
	s_cbranch_execz .LBB42_52
.LBB42_100:                             ;   in Loop: Header=BB42_39 Depth=2
	v_mov_b32_e32 v1, s58
	v_add_co_u32_e32 v58, vcc, s57, v154
	v_addc_co_u32_e32 v59, vcc, v1, v155, vcc
	global_load_dwordx2 v[58:59], v[58:59], off
	s_or_b64 exec, exec, s[44:45]
	s_and_saveexec_b64 s[44:45], s[26:27]
	s_cbranch_execz .LBB42_53
.LBB42_101:                             ;   in Loop: Header=BB42_39 Depth=2
	v_mov_b32_e32 v1, s58
	v_add_co_u32_e32 v60, vcc, s57, v156
	v_addc_co_u32_e32 v61, vcc, v1, v157, vcc
	global_load_dwordx2 v[60:61], v[60:61], off
	s_or_b64 exec, exec, s[44:45]
	s_and_saveexec_b64 s[44:45], s[28:29]
	s_cbranch_execz .LBB42_54
.LBB42_102:                             ;   in Loop: Header=BB42_39 Depth=2
	v_mov_b32_e32 v1, s58
	v_add_co_u32_e32 v62, vcc, s57, v158
	v_addc_co_u32_e32 v63, vcc, v1, v159, vcc
	global_load_dwordx2 v[62:63], v[62:63], off
	s_or_b64 exec, exec, s[44:45]
	s_and_saveexec_b64 s[44:45], s[30:31]
	s_cbranch_execnz .LBB42_55
	s_branch .LBB42_56
.LBB42_103:                             ;   in Loop: Header=BB42_4 Depth=1
	v_pk_mov_b32 v[34:35], v[66:67], v[66:67] op_sel:[0,1]
	v_pk_mov_b32 v[36:37], v[68:69], v[68:69] op_sel:[0,1]
	;; [unrolled: 1-line block ×16, first 2 shown]
.LBB42_104:                             ;   in Loop: Header=BB42_4 Depth=1
	s_and_saveexec_b64 s[42:43], s[0:1]
	s_cbranch_execnz .LBB42_120
; %bb.105:                              ;   in Loop: Header=BB42_4 Depth=1
	s_or_b64 exec, exec, s[42:43]
	s_and_saveexec_b64 s[0:1], s[2:3]
	s_cbranch_execnz .LBB42_121
.LBB42_106:                             ;   in Loop: Header=BB42_4 Depth=1
	s_or_b64 exec, exec, s[0:1]
	s_and_saveexec_b64 s[0:1], s[4:5]
	s_cbranch_execnz .LBB42_122
.LBB42_107:                             ;   in Loop: Header=BB42_4 Depth=1
	s_or_b64 exec, exec, s[0:1]
	s_and_saveexec_b64 s[0:1], s[6:7]
	s_cbranch_execnz .LBB42_123
.LBB42_108:                             ;   in Loop: Header=BB42_4 Depth=1
	s_or_b64 exec, exec, s[0:1]
	s_and_saveexec_b64 s[0:1], s[8:9]
	s_cbranch_execnz .LBB42_124
.LBB42_109:                             ;   in Loop: Header=BB42_4 Depth=1
	s_or_b64 exec, exec, s[0:1]
	s_and_saveexec_b64 s[0:1], s[10:11]
	s_cbranch_execnz .LBB42_125
.LBB42_110:                             ;   in Loop: Header=BB42_4 Depth=1
	s_or_b64 exec, exec, s[0:1]
	s_and_saveexec_b64 s[0:1], s[12:13]
	s_cbranch_execnz .LBB42_126
.LBB42_111:                             ;   in Loop: Header=BB42_4 Depth=1
	s_or_b64 exec, exec, s[0:1]
	s_and_saveexec_b64 s[0:1], s[14:15]
	s_cbranch_execnz .LBB42_127
.LBB42_112:                             ;   in Loop: Header=BB42_4 Depth=1
	s_or_b64 exec, exec, s[0:1]
	s_and_saveexec_b64 s[0:1], s[16:17]
	s_cbranch_execnz .LBB42_128
.LBB42_113:                             ;   in Loop: Header=BB42_4 Depth=1
	s_or_b64 exec, exec, s[0:1]
	s_and_saveexec_b64 s[0:1], s[18:19]
	s_cbranch_execnz .LBB42_129
.LBB42_114:                             ;   in Loop: Header=BB42_4 Depth=1
	s_or_b64 exec, exec, s[0:1]
	s_and_saveexec_b64 s[0:1], s[20:21]
	s_cbranch_execnz .LBB42_130
.LBB42_115:                             ;   in Loop: Header=BB42_4 Depth=1
	s_or_b64 exec, exec, s[0:1]
	s_and_saveexec_b64 s[0:1], s[22:23]
	s_cbranch_execnz .LBB42_131
.LBB42_116:                             ;   in Loop: Header=BB42_4 Depth=1
	s_or_b64 exec, exec, s[0:1]
	s_and_saveexec_b64 s[0:1], s[24:25]
	s_cbranch_execnz .LBB42_132
.LBB42_117:                             ;   in Loop: Header=BB42_4 Depth=1
	s_or_b64 exec, exec, s[0:1]
	s_and_saveexec_b64 s[0:1], s[26:27]
	s_cbranch_execnz .LBB42_133
.LBB42_118:                             ;   in Loop: Header=BB42_4 Depth=1
	s_or_b64 exec, exec, s[0:1]
	s_and_saveexec_b64 s[0:1], s[28:29]
	s_cbranch_execnz .LBB42_134
.LBB42_119:                             ;   in Loop: Header=BB42_4 Depth=1
	s_or_b64 exec, exec, s[0:1]
	s_and_saveexec_b64 s[0:1], s[30:31]
	s_cbranch_execz .LBB42_3
	s_branch .LBB42_135
.LBB42_120:                             ;   in Loop: Header=BB42_4 Depth=1
	v_lshlrev_b64 v[66:67], 3, v[98:99]
	v_mov_b32_e32 v1, s51
	v_add_co_u32_e32 v66, vcc, s50, v66
	v_addc_co_u32_e32 v67, vcc, v1, v67, vcc
	s_waitcnt vmcnt(0)
	global_store_dwordx2 v[66:67], v[2:3], off
	s_or_b64 exec, exec, s[42:43]
	s_and_saveexec_b64 s[0:1], s[2:3]
	s_cbranch_execz .LBB42_106
.LBB42_121:                             ;   in Loop: Header=BB42_4 Depth=1
	v_lshlrev_b64 v[66:67], 3, v[100:101]
	v_mov_b32_e32 v1, s51
	v_add_co_u32_e32 v66, vcc, s50, v66
	v_addc_co_u32_e32 v67, vcc, v1, v67, vcc
	s_waitcnt vmcnt(0)
	global_store_dwordx2 v[66:67], v[4:5], off
	s_or_b64 exec, exec, s[0:1]
	s_and_saveexec_b64 s[0:1], s[4:5]
	s_cbranch_execz .LBB42_107
.LBB42_122:                             ;   in Loop: Header=BB42_4 Depth=1
	v_lshlrev_b64 v[66:67], 3, v[102:103]
	v_mov_b32_e32 v1, s51
	v_add_co_u32_e32 v66, vcc, s50, v66
	v_addc_co_u32_e32 v67, vcc, v1, v67, vcc
	s_waitcnt vmcnt(0)
	global_store_dwordx2 v[66:67], v[6:7], off
	s_or_b64 exec, exec, s[0:1]
	s_and_saveexec_b64 s[0:1], s[6:7]
	s_cbranch_execz .LBB42_108
.LBB42_123:                             ;   in Loop: Header=BB42_4 Depth=1
	v_lshlrev_b64 v[66:67], 3, v[104:105]
	v_mov_b32_e32 v1, s51
	v_add_co_u32_e32 v66, vcc, s50, v66
	v_addc_co_u32_e32 v67, vcc, v1, v67, vcc
	s_waitcnt vmcnt(0)
	global_store_dwordx2 v[66:67], v[8:9], off
	s_or_b64 exec, exec, s[0:1]
	s_and_saveexec_b64 s[0:1], s[8:9]
	s_cbranch_execz .LBB42_109
.LBB42_124:                             ;   in Loop: Header=BB42_4 Depth=1
	v_lshlrev_b64 v[66:67], 3, v[106:107]
	v_mov_b32_e32 v1, s51
	v_add_co_u32_e32 v66, vcc, s50, v66
	v_addc_co_u32_e32 v67, vcc, v1, v67, vcc
	s_waitcnt vmcnt(0)
	global_store_dwordx2 v[66:67], v[10:11], off
	s_or_b64 exec, exec, s[0:1]
	s_and_saveexec_b64 s[0:1], s[10:11]
	s_cbranch_execz .LBB42_110
.LBB42_125:                             ;   in Loop: Header=BB42_4 Depth=1
	v_lshlrev_b64 v[66:67], 3, v[108:109]
	v_mov_b32_e32 v1, s51
	v_add_co_u32_e32 v66, vcc, s50, v66
	v_addc_co_u32_e32 v67, vcc, v1, v67, vcc
	s_waitcnt vmcnt(0)
	global_store_dwordx2 v[66:67], v[12:13], off
	s_or_b64 exec, exec, s[0:1]
	s_and_saveexec_b64 s[0:1], s[12:13]
	s_cbranch_execz .LBB42_111
.LBB42_126:                             ;   in Loop: Header=BB42_4 Depth=1
	v_lshlrev_b64 v[66:67], 3, v[110:111]
	v_mov_b32_e32 v1, s51
	v_add_co_u32_e32 v66, vcc, s50, v66
	v_addc_co_u32_e32 v67, vcc, v1, v67, vcc
	s_waitcnt vmcnt(0)
	global_store_dwordx2 v[66:67], v[14:15], off
	s_or_b64 exec, exec, s[0:1]
	s_and_saveexec_b64 s[0:1], s[14:15]
	s_cbranch_execz .LBB42_112
.LBB42_127:                             ;   in Loop: Header=BB42_4 Depth=1
	v_lshlrev_b64 v[66:67], 3, v[112:113]
	v_mov_b32_e32 v1, s51
	v_add_co_u32_e32 v66, vcc, s50, v66
	v_addc_co_u32_e32 v67, vcc, v1, v67, vcc
	s_waitcnt vmcnt(0)
	global_store_dwordx2 v[66:67], v[16:17], off
	s_or_b64 exec, exec, s[0:1]
	s_and_saveexec_b64 s[0:1], s[16:17]
	s_cbranch_execz .LBB42_113
.LBB42_128:                             ;   in Loop: Header=BB42_4 Depth=1
	v_lshlrev_b64 v[66:67], 3, v[114:115]
	v_mov_b32_e32 v1, s51
	v_add_co_u32_e32 v66, vcc, s50, v66
	v_addc_co_u32_e32 v67, vcc, v1, v67, vcc
	s_waitcnt vmcnt(0)
	global_store_dwordx2 v[66:67], v[18:19], off
	s_or_b64 exec, exec, s[0:1]
	s_and_saveexec_b64 s[0:1], s[18:19]
	s_cbranch_execz .LBB42_114
.LBB42_129:                             ;   in Loop: Header=BB42_4 Depth=1
	v_lshlrev_b64 v[66:67], 3, v[116:117]
	v_mov_b32_e32 v1, s51
	v_add_co_u32_e32 v66, vcc, s50, v66
	v_addc_co_u32_e32 v67, vcc, v1, v67, vcc
	s_waitcnt vmcnt(0)
	global_store_dwordx2 v[66:67], v[20:21], off
	s_or_b64 exec, exec, s[0:1]
	s_and_saveexec_b64 s[0:1], s[20:21]
	s_cbranch_execz .LBB42_115
.LBB42_130:                             ;   in Loop: Header=BB42_4 Depth=1
	v_lshlrev_b64 v[66:67], 3, v[118:119]
	v_mov_b32_e32 v1, s51
	v_add_co_u32_e32 v66, vcc, s50, v66
	v_addc_co_u32_e32 v67, vcc, v1, v67, vcc
	s_waitcnt vmcnt(0)
	global_store_dwordx2 v[66:67], v[22:23], off
	s_or_b64 exec, exec, s[0:1]
	s_and_saveexec_b64 s[0:1], s[22:23]
	s_cbranch_execz .LBB42_116
.LBB42_131:                             ;   in Loop: Header=BB42_4 Depth=1
	v_lshlrev_b64 v[66:67], 3, v[120:121]
	v_mov_b32_e32 v1, s51
	v_add_co_u32_e32 v66, vcc, s50, v66
	v_addc_co_u32_e32 v67, vcc, v1, v67, vcc
	s_waitcnt vmcnt(0)
	global_store_dwordx2 v[66:67], v[24:25], off
	s_or_b64 exec, exec, s[0:1]
	s_and_saveexec_b64 s[0:1], s[24:25]
	s_cbranch_execz .LBB42_117
.LBB42_132:                             ;   in Loop: Header=BB42_4 Depth=1
	v_lshlrev_b64 v[66:67], 3, v[122:123]
	v_mov_b32_e32 v1, s51
	v_add_co_u32_e32 v66, vcc, s50, v66
	v_addc_co_u32_e32 v67, vcc, v1, v67, vcc
	s_waitcnt vmcnt(0)
	global_store_dwordx2 v[66:67], v[26:27], off
	s_or_b64 exec, exec, s[0:1]
	s_and_saveexec_b64 s[0:1], s[26:27]
	s_cbranch_execz .LBB42_118
.LBB42_133:                             ;   in Loop: Header=BB42_4 Depth=1
	v_lshlrev_b64 v[66:67], 3, v[124:125]
	v_mov_b32_e32 v1, s51
	v_add_co_u32_e32 v66, vcc, s50, v66
	v_addc_co_u32_e32 v67, vcc, v1, v67, vcc
	s_waitcnt vmcnt(0)
	global_store_dwordx2 v[66:67], v[28:29], off
	s_or_b64 exec, exec, s[0:1]
	s_and_saveexec_b64 s[0:1], s[28:29]
	s_cbranch_execz .LBB42_119
.LBB42_134:                             ;   in Loop: Header=BB42_4 Depth=1
	v_lshlrev_b64 v[66:67], 3, v[126:127]
	v_mov_b32_e32 v1, s51
	v_add_co_u32_e32 v66, vcc, s50, v66
	v_addc_co_u32_e32 v67, vcc, v1, v67, vcc
	s_waitcnt vmcnt(0)
	global_store_dwordx2 v[66:67], v[30:31], off
	s_or_b64 exec, exec, s[0:1]
	s_and_saveexec_b64 s[0:1], s[30:31]
	s_cbranch_execz .LBB42_3
.LBB42_135:                             ;   in Loop: Header=BB42_4 Depth=1
	v_lshlrev_b64 v[66:67], 3, v[128:129]
	v_mov_b32_e32 v1, s51
	v_add_co_u32_e32 v66, vcc, s50, v66
	v_addc_co_u32_e32 v67, vcc, v1, v67, vcc
	s_waitcnt vmcnt(0)
	global_store_dwordx2 v[66:67], v[32:33], off
	s_branch .LBB42_3
.LBB42_136:
	s_endpgm
	.section	.rodata,"a",@progbits
	.p2align	6, 0x0
	.amdhsa_kernel _ZN9rocsolver6v33100L24stedc_mergeRotate_kernelIdEEviiPT_iilS3_Pi
		.amdhsa_group_segment_fixed_size 0
		.amdhsa_private_segment_fixed_size 0
		.amdhsa_kernarg_size 304
		.amdhsa_user_sgpr_count 6
		.amdhsa_user_sgpr_private_segment_buffer 1
		.amdhsa_user_sgpr_dispatch_ptr 0
		.amdhsa_user_sgpr_queue_ptr 0
		.amdhsa_user_sgpr_kernarg_segment_ptr 1
		.amdhsa_user_sgpr_dispatch_id 0
		.amdhsa_user_sgpr_flat_scratch_init 0
		.amdhsa_user_sgpr_kernarg_preload_length 0
		.amdhsa_user_sgpr_kernarg_preload_offset 0
		.amdhsa_user_sgpr_private_segment_size 0
		.amdhsa_uses_dynamic_stack 0
		.amdhsa_system_sgpr_private_segment_wavefront_offset 0
		.amdhsa_system_sgpr_workgroup_id_x 1
		.amdhsa_system_sgpr_workgroup_id_y 1
		.amdhsa_system_sgpr_workgroup_id_z 0
		.amdhsa_system_sgpr_workgroup_info 0
		.amdhsa_system_vgpr_workitem_id 0
		.amdhsa_next_free_vgpr 168
		.amdhsa_next_free_sgpr 59
		.amdhsa_accum_offset 168
		.amdhsa_reserve_vcc 1
		.amdhsa_reserve_flat_scratch 0
		.amdhsa_float_round_mode_32 0
		.amdhsa_float_round_mode_16_64 0
		.amdhsa_float_denorm_mode_32 3
		.amdhsa_float_denorm_mode_16_64 3
		.amdhsa_dx10_clamp 1
		.amdhsa_ieee_mode 1
		.amdhsa_fp16_overflow 0
		.amdhsa_tg_split 0
		.amdhsa_exception_fp_ieee_invalid_op 0
		.amdhsa_exception_fp_denorm_src 0
		.amdhsa_exception_fp_ieee_div_zero 0
		.amdhsa_exception_fp_ieee_overflow 0
		.amdhsa_exception_fp_ieee_underflow 0
		.amdhsa_exception_fp_ieee_inexact 0
		.amdhsa_exception_int_div_zero 0
	.end_amdhsa_kernel
	.section	.text._ZN9rocsolver6v33100L24stedc_mergeRotate_kernelIdEEviiPT_iilS3_Pi,"axG",@progbits,_ZN9rocsolver6v33100L24stedc_mergeRotate_kernelIdEEviiPT_iilS3_Pi,comdat
.Lfunc_end42:
	.size	_ZN9rocsolver6v33100L24stedc_mergeRotate_kernelIdEEviiPT_iilS3_Pi, .Lfunc_end42-_ZN9rocsolver6v33100L24stedc_mergeRotate_kernelIdEEviiPT_iilS3_Pi
                                        ; -- End function
	.section	.AMDGPU.csdata,"",@progbits
; Kernel info:
; codeLenInByte = 4500
; NumSgprs: 63
; NumVgprs: 168
; NumAgprs: 0
; TotalNumVgprs: 168
; ScratchSize: 0
; MemoryBound: 0
; FloatMode: 240
; IeeeMode: 1
; LDSByteSize: 0 bytes/workgroup (compile time only)
; SGPRBlocks: 7
; VGPRBlocks: 20
; NumSGPRsForWavesPerEU: 63
; NumVGPRsForWavesPerEU: 168
; AccumOffset: 168
; Occupancy: 3
; WaveLimiterHint : 1
; COMPUTE_PGM_RSRC2:SCRATCH_EN: 0
; COMPUTE_PGM_RSRC2:USER_SGPR: 6
; COMPUTE_PGM_RSRC2:TRAP_HANDLER: 0
; COMPUTE_PGM_RSRC2:TGID_X_EN: 1
; COMPUTE_PGM_RSRC2:TGID_Y_EN: 1
; COMPUTE_PGM_RSRC2:TGID_Z_EN: 0
; COMPUTE_PGM_RSRC2:TIDIG_COMP_CNT: 0
; COMPUTE_PGM_RSRC3_GFX90A:ACCUM_OFFSET: 41
; COMPUTE_PGM_RSRC3_GFX90A:TG_SPLIT: 0
	.section	.text._ZN9rocsolver6v33100L31stedc_mergeValues_SortDZ_kernelIdEEviiPT_lS3_Pi,"axG",@progbits,_ZN9rocsolver6v33100L31stedc_mergeValues_SortDZ_kernelIdEEviiPT_lS3_Pi,comdat
	.globl	_ZN9rocsolver6v33100L31stedc_mergeValues_SortDZ_kernelIdEEviiPT_lS3_Pi ; -- Begin function _ZN9rocsolver6v33100L31stedc_mergeValues_SortDZ_kernelIdEEviiPT_lS3_Pi
	.p2align	8
	.type	_ZN9rocsolver6v33100L31stedc_mergeValues_SortDZ_kernelIdEEviiPT_lS3_Pi,@function
_ZN9rocsolver6v33100L31stedc_mergeValues_SortDZ_kernelIdEEviiPT_lS3_Pi: ; @_ZN9rocsolver6v33100L31stedc_mergeValues_SortDZ_kernelIdEEviiPT_lS3_Pi
; %bb.0:
	s_load_dword s18, s[4:5], 0x4
	s_load_dwordx8 s[8:15], s[4:5], 0x8
	s_ashr_i32 s0, s7, 31
	s_mov_b32 s28, 0
	s_waitcnt lgkmcnt(0)
	s_ashr_i32 s19, s18, 31
	s_mul_i32 s1, s7, s11
	s_mul_hi_u32 s2, s7, s10
	s_add_i32 s1, s2, s1
	s_mul_i32 s0, s0, s10
	s_add_i32 s1, s1, s0
	s_mul_i32 s0, s7, s10
	s_lshl_b64 s[0:1], s[0:1], 3
	s_mul_i32 s7, s18, s7
	s_add_u32 s47, s8, s0
	s_mul_i32 s0, s7, 13
	s_addc_u32 s48, s9, s1
	s_ashr_i32 s1, s0, 31
	s_lshl_b64 s[0:1], s[0:1], 2
	s_add_u32 s2, s14, s0
	s_addc_u32 s3, s15, s1
	s_lshl_b32 s0, s18, 3
	s_ashr_i32 s1, s0, 31
	s_lshl_b64 s[0:1], s[0:1], 2
	s_add_u32 s49, s2, s0
	s_addc_u32 s50, s3, s1
	s_lshl_b64 s[0:1], s[18:19], 3
	s_add_u32 s39, s49, s0
	s_addc_u32 s40, s50, s1
	s_mul_i32 s3, s18, 0xffffffec
	s_mul_hi_i32 s2, s18, 0xffffffec
	s_add_u32 s10, s39, s3
	s_addc_u32 s11, s40, s2
	s_lshl_b64 s[24:25], s[18:19], 2
	s_add_u32 s43, s10, s24
	s_mul_i32 s8, s7, 10
	s_addc_u32 s44, s11, s25
	s_mul_i32 s2, s18, 7
	s_ashr_i32 s9, s8, 31
	s_ashr_i32 s3, s2, 31
	s_lshl_b64 s[8:9], s[8:9], 3
	s_add_u32 s8, s12, s8
	s_addc_u32 s9, s13, s9
	s_lshl_b64 s[2:3], s[2:3], 3
	s_add_u32 s33, s8, s2
	s_addc_u32 s38, s9, s3
	s_add_u32 s41, s33, s0
	s_addc_u32 s42, s38, s1
	;; [unrolled: 2-line block ×3, first 2 shown]
	s_ashr_i32 s7, s6, 31
	s_lshl_b64 s[20:21], s[6:7], 3
	s_add_u32 s0, s45, s20
	s_addc_u32 s1, s46, s21
	s_load_dwordx2 s[2:3], s[0:1], 0x0
	s_load_dword s12, s[4:5], 0x34
	s_waitcnt lgkmcnt(0)
	v_cmp_lt_f64_e64 s[0:1], s[2:3], 0
	s_mov_b32 s2, 0xbff00000
	s_and_b64 s[0:1], s[0:1], exec
	s_cselect_b32 s29, s2, 0x3ff00000
	s_add_u32 s0, s47, s20
	s_addc_u32 s1, s48, s21
	s_load_dwordx2 s[22:23], s[0:1], 0x0
	s_add_u32 s0, s8, s20
	s_addc_u32 s1, s9, s21
	s_lshl_b64 s[2:3], s[6:7], 2
	s_add_u32 s4, s10, s2
	s_addc_u32 s5, s11, s3
	s_add_u32 s8, s43, s2
	s_addc_u32 s9, s44, s3
	s_and_b32 s51, s12, 0xffff
	s_lshl_b32 s52, s51, 3
	v_cvt_f32_u32_e32 v1, s52
	s_load_dword s53, s[4:5], 0x0
	s_sub_i32 s4, 0, s52
	s_load_dwordx2 s[26:27], s[0:1], 0x0
	s_load_dword s7, s[8:9], 0x0
	v_rcp_iflag_f32_e32 v1, v1
	v_pk_mov_b32 v[2:3], s[28:29], s[28:29] op_sel:[0,1]
	s_waitcnt lgkmcnt(0)
	s_add_i32 s0, s53, -1
	s_ashr_i32 s1, s0, 31
	v_mul_f32_e32 v1, 0x4f7ffffe, v1
	v_cvt_u32_f32_e32 v1, v1
	s_abs_i32 s0, s0
	v_mul_f64 v[26:27], s[22:23], v[2:3]
	v_mov_b32_e32 v2, 0
	v_readfirstlane_b32 s5, v1
	s_mul_i32 s4, s4, s5
	s_mul_hi_u32 s4, s5, s4
	s_add_i32 s5, s5, s4
	s_mul_hi_u32 s4, s0, s5
	s_mul_i32 s5, s4, s52
	s_sub_i32 s0, s0, s5
	s_add_i32 s5, s4, 1
	s_sub_i32 s8, s0, s52
	s_cmp_ge_u32 s0, s52
	s_cselect_b32 s4, s5, s4
	s_cselect_b32 s0, s8, s0
	s_add_i32 s5, s4, 1
	s_cmp_ge_u32 s0, s52
	s_cselect_b32 s0, s5, s4
	s_xor_b32 s0, s0, s1
	s_sub_i32 s4, s0, s1
	s_cmp_lt_i32 s4, 0
	s_mov_b64 s[0:1], -1
	v_mov_b32_e32 v1, 0
	s_cbranch_scc1 .LBB43_68
; %bb.1:
	s_add_u32 s0, s49, s2
	s_addc_u32 s1, s50, s3
	s_load_dword s54, s[0:1], 0x0
	s_lshl_b32 s0, s51, 1
	s_add_i32 s56, s7, s0
	s_mul_i32 s0, s51, 3
	s_add_i32 s57, s7, s0
	s_lshl_b32 s0, s51, 2
	s_add_i32 s58, s7, s0
	s_mul_i32 s0, s51, 5
	s_add_i32 s59, s7, s0
	s_mul_i32 s0, s51, 6
	;; [unrolled: 2-line block ×3, first 2 shown]
	s_add_i32 s55, s4, 1
	s_add_i32 s61, s7, s0
	;; [unrolled: 1-line block ×3, first 2 shown]
	v_mov_b32_e32 v28, 0
	v_mov_b32_e32 v29, v0
	;; [unrolled: 1-line block ×5, first 2 shown]
                                        ; implicit-def: $vgpr2_vgpr3_vgpr4_vgpr5_vgpr6_vgpr7_vgpr8_vgpr9_vgpr10_vgpr11_vgpr12_vgpr13_vgpr14_vgpr15_vgpr16_vgpr17
                                        ; implicit-def: $vgpr18_vgpr19_vgpr20_vgpr21_vgpr22_vgpr23_vgpr24_vgpr25
	s_branch .LBB43_4
.LBB43_2:                               ;   in Loop: Header=BB43_4 Depth=1
	s_or_b64 exec, exec, s[8:9]
	v_cmp_u_f64_e32 vcc, v[16:17], v[16:17]
	v_cndmask_b32_e64 v32, 0, 1, s[4:5]
	v_addc_co_u32_e32 v28, vcc, 0, v28, vcc
	v_add_u32_e32 v30, v30, v32
	v_cmp_lt_i32_e32 vcc, 0, v25
	v_cndmask_b32_e64 v32, 0, 1, s[0:1]
	v_addc_co_u32_e32 v1, vcc, 0, v1, vcc
	v_add_u32_e32 v31, v31, v32
.LBB43_3:                               ;   in Loop: Header=BB43_4 Depth=1
	s_or_b64 exec, exec, s[2:3]
	s_add_i32 s55, s55, -1
	s_cmp_eq_u32 s55, 0
	v_add_u32_e32 v29, s52, v29
	s_cbranch_scc1 .LBB43_67
.LBB43_4:                               ; =>This Inner Loop Header: Depth=1
	v_cmp_gt_i32_e64 s[14:15], s53, v29
	s_and_saveexec_b64 s[0:1], s[14:15]
	s_cbranch_execz .LBB43_6
; %bb.5:                                ;   in Loop: Header=BB43_4 Depth=1
	v_add_u32_e32 v2, s7, v29
	v_ashrrev_i32_e32 v3, 31, v2
	v_lshlrev_b64 v[32:33], 3, v[2:3]
	s_waitcnt vmcnt(0)
	v_mov_b32_e32 v18, s48
	v_add_co_u32_e32 v32, vcc, s47, v32
	v_addc_co_u32_e32 v33, vcc, v18, v33, vcc
	v_lshlrev_b64 v[2:3], 2, v[2:3]
	v_mov_b32_e32 v18, s50
	v_add_co_u32_e32 v2, vcc, s49, v2
	global_load_dwordx2 v[32:33], v[32:33], off
	v_addc_co_u32_e32 v3, vcc, v18, v3, vcc
	global_load_dword v18, v[2:3], off
	s_waitcnt vmcnt(1)
	v_mul_f64 v[2:3], s[28:29], v[32:33]
.LBB43_6:                               ;   in Loop: Header=BB43_4 Depth=1
	s_or_b64 exec, exec, s[0:1]
	v_add_u32_e32 v32, s51, v29
	v_cmp_gt_i32_e64 s[12:13], s53, v32
	s_and_saveexec_b64 s[0:1], s[12:13]
	s_cbranch_execz .LBB43_8
; %bb.7:                                ;   in Loop: Header=BB43_4 Depth=1
	v_add_u32_e32 v4, s62, v29
	v_ashrrev_i32_e32 v5, 31, v4
	v_lshlrev_b64 v[34:35], 3, v[4:5]
	s_waitcnt vmcnt(0)
	v_mov_b32_e32 v19, s48
	v_add_co_u32_e32 v34, vcc, s47, v34
	v_addc_co_u32_e32 v35, vcc, v19, v35, vcc
	v_lshlrev_b64 v[4:5], 2, v[4:5]
	v_mov_b32_e32 v19, s50
	v_add_co_u32_e32 v4, vcc, s49, v4
	global_load_dwordx2 v[34:35], v[34:35], off
	v_addc_co_u32_e32 v5, vcc, v19, v5, vcc
	global_load_dword v19, v[4:5], off
	s_waitcnt vmcnt(1)
	v_mul_f64 v[4:5], s[28:29], v[34:35]
.LBB43_8:                               ;   in Loop: Header=BB43_4 Depth=1
	s_or_b64 exec, exec, s[0:1]
	v_add_u32_e32 v32, s51, v32
	v_cmp_gt_i32_e64 s[10:11], s53, v32
	s_and_saveexec_b64 s[0:1], s[10:11]
	s_cbranch_execz .LBB43_10
; %bb.9:                                ;   in Loop: Header=BB43_4 Depth=1
	v_add_u32_e32 v6, s56, v29
	v_ashrrev_i32_e32 v7, 31, v6
	v_lshlrev_b64 v[34:35], 3, v[6:7]
	s_waitcnt vmcnt(0)
	v_mov_b32_e32 v20, s48
	v_add_co_u32_e32 v34, vcc, s47, v34
	v_addc_co_u32_e32 v35, vcc, v20, v35, vcc
	v_lshlrev_b64 v[6:7], 2, v[6:7]
	v_mov_b32_e32 v20, s50
	v_add_co_u32_e32 v6, vcc, s49, v6
	global_load_dwordx2 v[34:35], v[34:35], off
	v_addc_co_u32_e32 v7, vcc, v20, v7, vcc
	global_load_dword v20, v[6:7], off
	s_waitcnt vmcnt(1)
	v_mul_f64 v[6:7], s[28:29], v[34:35]
.LBB43_10:                              ;   in Loop: Header=BB43_4 Depth=1
	s_or_b64 exec, exec, s[0:1]
	v_add_u32_e32 v32, s51, v32
	v_cmp_gt_i32_e64 s[8:9], s53, v32
	s_and_saveexec_b64 s[0:1], s[8:9]
	s_cbranch_execz .LBB43_12
; %bb.11:                               ;   in Loop: Header=BB43_4 Depth=1
	v_add_u32_e32 v8, s57, v29
	v_ashrrev_i32_e32 v9, 31, v8
	v_lshlrev_b64 v[34:35], 3, v[8:9]
	s_waitcnt vmcnt(0)
	v_mov_b32_e32 v21, s48
	v_add_co_u32_e32 v34, vcc, s47, v34
	v_addc_co_u32_e32 v35, vcc, v21, v35, vcc
	v_lshlrev_b64 v[8:9], 2, v[8:9]
	v_mov_b32_e32 v21, s50
	v_add_co_u32_e32 v8, vcc, s49, v8
	global_load_dwordx2 v[34:35], v[34:35], off
	v_addc_co_u32_e32 v9, vcc, v21, v9, vcc
	global_load_dword v21, v[8:9], off
	s_waitcnt vmcnt(1)
	v_mul_f64 v[8:9], s[28:29], v[34:35]
.LBB43_12:                              ;   in Loop: Header=BB43_4 Depth=1
	s_or_b64 exec, exec, s[0:1]
	v_add_u32_e32 v32, s51, v32
	v_cmp_gt_i32_e64 s[4:5], s53, v32
	s_and_saveexec_b64 s[0:1], s[4:5]
	s_cbranch_execz .LBB43_14
; %bb.13:                               ;   in Loop: Header=BB43_4 Depth=1
	v_add_u32_e32 v10, s58, v29
	v_ashrrev_i32_e32 v11, 31, v10
	v_lshlrev_b64 v[34:35], 3, v[10:11]
	s_waitcnt vmcnt(0)
	v_mov_b32_e32 v22, s48
	v_add_co_u32_e32 v34, vcc, s47, v34
	v_addc_co_u32_e32 v35, vcc, v22, v35, vcc
	v_lshlrev_b64 v[10:11], 2, v[10:11]
	v_mov_b32_e32 v22, s50
	v_add_co_u32_e32 v10, vcc, s49, v10
	global_load_dwordx2 v[34:35], v[34:35], off
	v_addc_co_u32_e32 v11, vcc, v22, v11, vcc
	global_load_dword v22, v[10:11], off
	s_waitcnt vmcnt(1)
	v_mul_f64 v[10:11], s[28:29], v[34:35]
.LBB43_14:                              ;   in Loop: Header=BB43_4 Depth=1
	;; [unrolled: 22-line block ×4, first 2 shown]
	s_or_b64 exec, exec, s[16:17]
	v_add_u32_e32 v32, s51, v32
	v_cmp_gt_i32_e32 vcc, s53, v32
	s_and_saveexec_b64 s[30:31], vcc
	s_cbranch_execnz .LBB43_27
; %bb.19:                               ;   in Loop: Header=BB43_4 Depth=1
	s_or_b64 exec, exec, s[30:31]
	s_and_saveexec_b64 s[30:31], s[14:15]
	s_cbranch_execnz .LBB43_28
.LBB43_20:                              ;   in Loop: Header=BB43_4 Depth=1
	s_or_b64 exec, exec, s[30:31]
	s_and_saveexec_b64 s[16:17], s[12:13]
	s_cbranch_execnz .LBB43_33
.LBB43_21:                              ;   in Loop: Header=BB43_4 Depth=1
	s_or_b64 exec, exec, s[16:17]
	s_and_saveexec_b64 s[14:15], s[10:11]
	s_cbranch_execnz .LBB43_38
.LBB43_22:                              ;   in Loop: Header=BB43_4 Depth=1
	s_or_b64 exec, exec, s[14:15]
	s_and_saveexec_b64 s[12:13], s[8:9]
	s_cbranch_execnz .LBB43_43
.LBB43_23:                              ;   in Loop: Header=BB43_4 Depth=1
	s_or_b64 exec, exec, s[12:13]
	s_and_saveexec_b64 s[10:11], s[4:5]
	s_cbranch_execnz .LBB43_48
.LBB43_24:                              ;   in Loop: Header=BB43_4 Depth=1
	s_or_b64 exec, exec, s[10:11]
	s_and_saveexec_b64 s[8:9], s[2:3]
	s_cbranch_execnz .LBB43_53
.LBB43_25:                              ;   in Loop: Header=BB43_4 Depth=1
	s_or_b64 exec, exec, s[8:9]
	s_and_saveexec_b64 s[4:5], s[0:1]
	s_cbranch_execnz .LBB43_58
.LBB43_26:                              ;   in Loop: Header=BB43_4 Depth=1
	s_or_b64 exec, exec, s[4:5]
	s_and_saveexec_b64 s[2:3], vcc
	s_cbranch_execz .LBB43_3
	s_branch .LBB43_63
.LBB43_27:                              ;   in Loop: Header=BB43_4 Depth=1
	v_add_u32_e32 v16, s61, v29
	v_ashrrev_i32_e32 v17, 31, v16
	v_lshlrev_b64 v[32:33], 3, v[16:17]
	s_waitcnt vmcnt(0)
	v_mov_b32_e32 v25, s48
	v_add_co_u32_e64 v32, s[16:17], s47, v32
	v_addc_co_u32_e64 v33, s[16:17], v25, v33, s[16:17]
	v_lshlrev_b64 v[16:17], 2, v[16:17]
	v_mov_b32_e32 v25, s50
	v_add_co_u32_e64 v16, s[16:17], s49, v16
	global_load_dwordx2 v[32:33], v[32:33], off
	v_addc_co_u32_e64 v17, s[16:17], v25, v17, s[16:17]
	global_load_dword v25, v[16:17], off
	s_waitcnt vmcnt(1)
	v_mul_f64 v[16:17], s[28:29], v[32:33]
	s_or_b64 exec, exec, s[30:31]
	s_and_saveexec_b64 s[30:31], s[14:15]
	s_cbranch_execz .LBB43_20
.LBB43_28:                              ;   in Loop: Header=BB43_4 Depth=1
	s_waitcnt vmcnt(0) lgkmcnt(0)
	v_cmp_ge_i32_e64 s[14:15], s54, v18
	s_mov_b64 s[34:35], -1
	s_and_saveexec_b64 s[36:37], s[14:15]
; %bb.29:                               ;   in Loop: Header=BB43_4 Depth=1
	v_cmp_eq_u32_e64 s[14:15], s54, v18
	v_cmp_lt_f64_e64 s[16:17], v[2:3], v[26:27]
	s_and_b64 s[14:15], s[14:15], s[16:17]
	s_orn2_b64 s[34:35], s[14:15], exec
; %bb.30:                               ;   in Loop: Header=BB43_4 Depth=1
	s_or_b64 exec, exec, s[36:37]
	v_cmp_eq_u32_e64 s[14:15], s54, v18
	v_cmp_eq_f64_e64 s[16:17], v[2:3], v[26:27]
	s_and_b64 s[14:15], s[14:15], s[16:17]
	s_mov_b64 s[16:17], 0
	s_and_saveexec_b64 s[36:37], s[14:15]
; %bb.31:                               ;   in Loop: Header=BB43_4 Depth=1
	v_add_u32_e32 v32, s7, v29
	v_cmp_gt_i32_e64 s[14:15], s6, v32
	s_and_b64 s[16:17], s[14:15], exec
; %bb.32:                               ;   in Loop: Header=BB43_4 Depth=1
	s_or_b64 exec, exec, s[36:37]
	v_cmp_u_f64_e64 s[14:15], v[2:3], v[2:3]
	v_cndmask_b32_e64 v32, 0, 1, s[34:35]
	v_addc_co_u32_e64 v28, s[14:15], 0, v28, s[14:15]
	v_add_u32_e32 v30, v30, v32
	v_cmp_lt_i32_e64 s[14:15], 0, v18
	v_cndmask_b32_e64 v32, 0, 1, s[16:17]
	v_addc_co_u32_e64 v1, s[14:15], 0, v1, s[14:15]
	v_add_u32_e32 v31, v31, v32
	s_or_b64 exec, exec, s[30:31]
	s_and_saveexec_b64 s[16:17], s[12:13]
	s_cbranch_execz .LBB43_21
.LBB43_33:                              ;   in Loop: Header=BB43_4 Depth=1
	s_waitcnt vmcnt(0) lgkmcnt(0)
	v_cmp_ge_i32_e64 s[12:13], s54, v19
	s_mov_b64 s[30:31], -1
	s_and_saveexec_b64 s[34:35], s[12:13]
; %bb.34:                               ;   in Loop: Header=BB43_4 Depth=1
	v_cmp_eq_u32_e64 s[12:13], s54, v19
	v_cmp_lt_f64_e64 s[14:15], v[4:5], v[26:27]
	s_and_b64 s[12:13], s[12:13], s[14:15]
	s_orn2_b64 s[30:31], s[12:13], exec
; %bb.35:                               ;   in Loop: Header=BB43_4 Depth=1
	s_or_b64 exec, exec, s[34:35]
	v_cmp_eq_u32_e64 s[12:13], s54, v19
	v_cmp_eq_f64_e64 s[14:15], v[4:5], v[26:27]
	s_and_b64 s[12:13], s[12:13], s[14:15]
	s_mov_b64 s[14:15], 0
	s_and_saveexec_b64 s[34:35], s[12:13]
; %bb.36:                               ;   in Loop: Header=BB43_4 Depth=1
	v_add_u32_e32 v32, s62, v29
	v_cmp_gt_i32_e64 s[12:13], s6, v32
	s_and_b64 s[14:15], s[12:13], exec
; %bb.37:                               ;   in Loop: Header=BB43_4 Depth=1
	s_or_b64 exec, exec, s[34:35]
	v_cmp_u_f64_e64 s[12:13], v[4:5], v[4:5]
	v_cndmask_b32_e64 v32, 0, 1, s[30:31]
	v_addc_co_u32_e64 v28, s[12:13], 0, v28, s[12:13]
	v_add_u32_e32 v30, v30, v32
	v_cmp_lt_i32_e64 s[12:13], 0, v19
	v_cndmask_b32_e64 v32, 0, 1, s[14:15]
	v_addc_co_u32_e64 v1, s[12:13], 0, v1, s[12:13]
	v_add_u32_e32 v31, v31, v32
	s_or_b64 exec, exec, s[16:17]
	s_and_saveexec_b64 s[14:15], s[10:11]
	s_cbranch_execz .LBB43_22
.LBB43_38:                              ;   in Loop: Header=BB43_4 Depth=1
	s_waitcnt vmcnt(0) lgkmcnt(0)
	v_cmp_ge_i32_e64 s[10:11], s54, v20
	s_mov_b64 s[16:17], -1
	s_and_saveexec_b64 s[30:31], s[10:11]
; %bb.39:                               ;   in Loop: Header=BB43_4 Depth=1
	v_cmp_eq_u32_e64 s[10:11], s54, v20
	v_cmp_lt_f64_e64 s[12:13], v[6:7], v[26:27]
	s_and_b64 s[10:11], s[10:11], s[12:13]
	s_orn2_b64 s[16:17], s[10:11], exec
; %bb.40:                               ;   in Loop: Header=BB43_4 Depth=1
	s_or_b64 exec, exec, s[30:31]
	v_cmp_eq_u32_e64 s[10:11], s54, v20
	v_cmp_eq_f64_e64 s[12:13], v[6:7], v[26:27]
	s_and_b64 s[10:11], s[10:11], s[12:13]
	s_mov_b64 s[12:13], 0
	s_and_saveexec_b64 s[30:31], s[10:11]
; %bb.41:                               ;   in Loop: Header=BB43_4 Depth=1
	v_add_u32_e32 v32, s56, v29
	v_cmp_gt_i32_e64 s[10:11], s6, v32
	s_and_b64 s[12:13], s[10:11], exec
; %bb.42:                               ;   in Loop: Header=BB43_4 Depth=1
	s_or_b64 exec, exec, s[30:31]
	v_cmp_u_f64_e64 s[10:11], v[6:7], v[6:7]
	v_cndmask_b32_e64 v32, 0, 1, s[16:17]
	v_addc_co_u32_e64 v28, s[10:11], 0, v28, s[10:11]
	v_add_u32_e32 v30, v30, v32
	v_cmp_lt_i32_e64 s[10:11], 0, v20
	v_cndmask_b32_e64 v32, 0, 1, s[12:13]
	v_addc_co_u32_e64 v1, s[10:11], 0, v1, s[10:11]
	v_add_u32_e32 v31, v31, v32
	s_or_b64 exec, exec, s[14:15]
	s_and_saveexec_b64 s[12:13], s[8:9]
	s_cbranch_execz .LBB43_23
.LBB43_43:                              ;   in Loop: Header=BB43_4 Depth=1
	s_waitcnt vmcnt(0) lgkmcnt(0)
	v_cmp_ge_i32_e64 s[8:9], s54, v21
	s_mov_b64 s[14:15], -1
	s_and_saveexec_b64 s[16:17], s[8:9]
; %bb.44:                               ;   in Loop: Header=BB43_4 Depth=1
	v_cmp_eq_u32_e64 s[8:9], s54, v21
	v_cmp_lt_f64_e64 s[10:11], v[8:9], v[26:27]
	s_and_b64 s[8:9], s[8:9], s[10:11]
	s_orn2_b64 s[14:15], s[8:9], exec
; %bb.45:                               ;   in Loop: Header=BB43_4 Depth=1
	s_or_b64 exec, exec, s[16:17]
	v_cmp_eq_u32_e64 s[8:9], s54, v21
	v_cmp_eq_f64_e64 s[10:11], v[8:9], v[26:27]
	s_and_b64 s[8:9], s[8:9], s[10:11]
	s_mov_b64 s[10:11], 0
	s_and_saveexec_b64 s[16:17], s[8:9]
; %bb.46:                               ;   in Loop: Header=BB43_4 Depth=1
	v_add_u32_e32 v32, s57, v29
	v_cmp_gt_i32_e64 s[8:9], s6, v32
	s_and_b64 s[10:11], s[8:9], exec
; %bb.47:                               ;   in Loop: Header=BB43_4 Depth=1
	s_or_b64 exec, exec, s[16:17]
	v_cmp_u_f64_e64 s[8:9], v[8:9], v[8:9]
	v_cndmask_b32_e64 v32, 0, 1, s[14:15]
	v_addc_co_u32_e64 v28, s[8:9], 0, v28, s[8:9]
	v_add_u32_e32 v30, v30, v32
	v_cmp_lt_i32_e64 s[8:9], 0, v21
	v_cndmask_b32_e64 v32, 0, 1, s[10:11]
	v_addc_co_u32_e64 v1, s[8:9], 0, v1, s[8:9]
	v_add_u32_e32 v31, v31, v32
	s_or_b64 exec, exec, s[12:13]
	s_and_saveexec_b64 s[10:11], s[4:5]
	s_cbranch_execz .LBB43_24
.LBB43_48:                              ;   in Loop: Header=BB43_4 Depth=1
	s_waitcnt vmcnt(0) lgkmcnt(0)
	v_cmp_ge_i32_e64 s[4:5], s54, v22
	s_mov_b64 s[12:13], -1
	s_and_saveexec_b64 s[14:15], s[4:5]
; %bb.49:                               ;   in Loop: Header=BB43_4 Depth=1
	v_cmp_eq_u32_e64 s[4:5], s54, v22
	v_cmp_lt_f64_e64 s[8:9], v[10:11], v[26:27]
	s_and_b64 s[4:5], s[4:5], s[8:9]
	s_orn2_b64 s[12:13], s[4:5], exec
; %bb.50:                               ;   in Loop: Header=BB43_4 Depth=1
	s_or_b64 exec, exec, s[14:15]
	v_cmp_eq_u32_e64 s[4:5], s54, v22
	v_cmp_eq_f64_e64 s[8:9], v[10:11], v[26:27]
	s_and_b64 s[4:5], s[4:5], s[8:9]
	s_mov_b64 s[8:9], 0
	s_and_saveexec_b64 s[14:15], s[4:5]
; %bb.51:                               ;   in Loop: Header=BB43_4 Depth=1
	v_add_u32_e32 v32, s58, v29
	v_cmp_gt_i32_e64 s[4:5], s6, v32
	s_and_b64 s[8:9], s[4:5], exec
; %bb.52:                               ;   in Loop: Header=BB43_4 Depth=1
	s_or_b64 exec, exec, s[14:15]
	v_cmp_u_f64_e64 s[4:5], v[10:11], v[10:11]
	v_cndmask_b32_e64 v32, 0, 1, s[12:13]
	v_addc_co_u32_e64 v28, s[4:5], 0, v28, s[4:5]
	v_add_u32_e32 v30, v30, v32
	v_cmp_lt_i32_e64 s[4:5], 0, v22
	v_cndmask_b32_e64 v32, 0, 1, s[8:9]
	v_addc_co_u32_e64 v1, s[4:5], 0, v1, s[4:5]
	v_add_u32_e32 v31, v31, v32
	s_or_b64 exec, exec, s[10:11]
	s_and_saveexec_b64 s[8:9], s[2:3]
	s_cbranch_execz .LBB43_25
.LBB43_53:                              ;   in Loop: Header=BB43_4 Depth=1
	s_waitcnt vmcnt(0) lgkmcnt(0)
	v_cmp_ge_i32_e64 s[2:3], s54, v23
	s_mov_b64 s[10:11], -1
	s_and_saveexec_b64 s[12:13], s[2:3]
; %bb.54:                               ;   in Loop: Header=BB43_4 Depth=1
	v_cmp_eq_u32_e64 s[2:3], s54, v23
	v_cmp_lt_f64_e64 s[4:5], v[12:13], v[26:27]
	s_and_b64 s[2:3], s[2:3], s[4:5]
	s_orn2_b64 s[10:11], s[2:3], exec
; %bb.55:                               ;   in Loop: Header=BB43_4 Depth=1
	s_or_b64 exec, exec, s[12:13]
	v_cmp_eq_u32_e64 s[2:3], s54, v23
	v_cmp_eq_f64_e64 s[4:5], v[12:13], v[26:27]
	s_and_b64 s[2:3], s[2:3], s[4:5]
	s_mov_b64 s[4:5], 0
	s_and_saveexec_b64 s[12:13], s[2:3]
; %bb.56:                               ;   in Loop: Header=BB43_4 Depth=1
	v_add_u32_e32 v32, s59, v29
	v_cmp_gt_i32_e64 s[2:3], s6, v32
	s_and_b64 s[4:5], s[2:3], exec
; %bb.57:                               ;   in Loop: Header=BB43_4 Depth=1
	s_or_b64 exec, exec, s[12:13]
	v_cmp_u_f64_e64 s[2:3], v[12:13], v[12:13]
	v_cndmask_b32_e64 v32, 0, 1, s[10:11]
	v_addc_co_u32_e64 v28, s[2:3], 0, v28, s[2:3]
	v_add_u32_e32 v30, v30, v32
	v_cmp_lt_i32_e64 s[2:3], 0, v23
	v_cndmask_b32_e64 v32, 0, 1, s[4:5]
	v_addc_co_u32_e64 v1, s[2:3], 0, v1, s[2:3]
	v_add_u32_e32 v31, v31, v32
	s_or_b64 exec, exec, s[8:9]
	s_and_saveexec_b64 s[4:5], s[0:1]
	s_cbranch_execz .LBB43_26
.LBB43_58:                              ;   in Loop: Header=BB43_4 Depth=1
	s_waitcnt vmcnt(0) lgkmcnt(0)
	v_cmp_ge_i32_e64 s[0:1], s54, v24
	s_mov_b64 s[8:9], -1
	s_and_saveexec_b64 s[10:11], s[0:1]
; %bb.59:                               ;   in Loop: Header=BB43_4 Depth=1
	v_cmp_eq_u32_e64 s[0:1], s54, v24
	v_cmp_lt_f64_e64 s[2:3], v[14:15], v[26:27]
	s_and_b64 s[0:1], s[0:1], s[2:3]
	s_orn2_b64 s[8:9], s[0:1], exec
; %bb.60:                               ;   in Loop: Header=BB43_4 Depth=1
	s_or_b64 exec, exec, s[10:11]
	v_cmp_eq_u32_e64 s[0:1], s54, v24
	v_cmp_eq_f64_e64 s[2:3], v[14:15], v[26:27]
	s_and_b64 s[0:1], s[0:1], s[2:3]
	s_mov_b64 s[2:3], 0
	s_and_saveexec_b64 s[10:11], s[0:1]
; %bb.61:                               ;   in Loop: Header=BB43_4 Depth=1
	v_add_u32_e32 v32, s60, v29
	v_cmp_gt_i32_e64 s[0:1], s6, v32
	s_and_b64 s[2:3], s[0:1], exec
; %bb.62:                               ;   in Loop: Header=BB43_4 Depth=1
	s_or_b64 exec, exec, s[10:11]
	v_cmp_u_f64_e64 s[0:1], v[14:15], v[14:15]
	v_cndmask_b32_e64 v32, 0, 1, s[8:9]
	v_addc_co_u32_e64 v28, s[0:1], 0, v28, s[0:1]
	v_add_u32_e32 v30, v30, v32
	v_cmp_lt_i32_e64 s[0:1], 0, v24
	v_cndmask_b32_e64 v32, 0, 1, s[2:3]
	v_addc_co_u32_e64 v1, s[0:1], 0, v1, s[0:1]
	v_add_u32_e32 v31, v31, v32
	s_or_b64 exec, exec, s[4:5]
	s_and_saveexec_b64 s[2:3], vcc
	s_cbranch_execz .LBB43_3
.LBB43_63:                              ;   in Loop: Header=BB43_4 Depth=1
	s_waitcnt vmcnt(0) lgkmcnt(0)
	v_cmp_ge_i32_e32 vcc, s54, v25
	s_mov_b64 s[4:5], -1
	s_and_saveexec_b64 s[8:9], vcc
; %bb.64:                               ;   in Loop: Header=BB43_4 Depth=1
	v_cmp_eq_u32_e32 vcc, s54, v25
	v_cmp_lt_f64_e64 s[0:1], v[16:17], v[26:27]
	s_and_b64 s[0:1], vcc, s[0:1]
	s_orn2_b64 s[4:5], s[0:1], exec
; %bb.65:                               ;   in Loop: Header=BB43_4 Depth=1
	s_or_b64 exec, exec, s[8:9]
	v_cmp_eq_u32_e32 vcc, s54, v25
	v_cmp_eq_f64_e64 s[0:1], v[16:17], v[26:27]
	s_and_b64 s[10:11], vcc, s[0:1]
	s_mov_b64 s[0:1], 0
	s_and_saveexec_b64 s[8:9], s[10:11]
	s_cbranch_execz .LBB43_2
; %bb.66:                               ;   in Loop: Header=BB43_4 Depth=1
	v_add_u32_e32 v32, s61, v29
	v_cmp_gt_i32_e32 vcc, s6, v32
	s_and_b64 s[0:1], vcc, exec
	s_branch .LBB43_2
.LBB43_67:
	v_add_u32_e32 v2, v30, v31
	v_cmp_eq_u32_e64 s[0:1], 0, v28
.LBB43_68:
	v_lshlrev_b32_e32 v3, 2, v0
	s_cmp_lt_u32 s51, 2
	ds_write2st64_b32 v3, v1, v2 offset1:8
	s_waitcnt lgkmcnt(0)
	s_barrier
	s_cbranch_scc1 .LBB43_73
; %bb.69:
	v_or_b32_e32 v4, 0x800, v3
	s_lshr_b32 s4, s51, 1
	v_cmp_gt_u32_e32 vcc, s4, v0
	s_and_saveexec_b64 s[2:3], vcc
	s_cbranch_execz .LBB43_71
.LBB43_70:
	s_lshl_b32 s5, s4, 2
	v_add_u32_e32 v5, s5, v4
	v_add_u32_e32 v6, s5, v3
	ds_read_b32 v5, v5
	ds_read_b32 v6, v6
	s_waitcnt lgkmcnt(1)
	v_add_u32_e32 v2, v5, v2
	s_waitcnt lgkmcnt(0)
	v_add_u32_e32 v1, v6, v1
	ds_write_b32 v4, v2
	ds_write_b32 v3, v1
.LBB43_71:                              ; =>This Inner Loop Header: Depth=1
	s_or_b64 exec, exec, s[2:3]
	s_cmp_gt_u32 s51, 3
	s_waitcnt lgkmcnt(0)
	s_barrier
	s_cbranch_scc0 .LBB43_73
; %bb.72:                               ;   in Loop: Header=BB43_71 Depth=1
	s_mov_b32 s51, s4
	s_lshr_b32 s4, s51, 1
	v_cmp_gt_u32_e32 vcc, s4, v0
	s_and_saveexec_b64 s[2:3], vcc
	s_cbranch_execnz .LBB43_70
	s_branch .LBB43_71
.LBB43_73:
	s_xor_b64 s[0:1], s[0:1], -1
	v_cmp_eq_u32_e32 vcc, 0, v0
	s_and_saveexec_b64 s[2:3], vcc
	s_cbranch_execz .LBB43_75
; %bb.74:
	v_add_u32_e32 v2, s7, v2
	s_add_u32 s8, s43, s24
	v_ashrrev_i32_e32 v3, 31, v2
	s_addc_u32 s9, s44, s25
	v_lshlrev_b64 v[4:5], 2, v[2:3]
	v_mov_b32_e32 v0, s9
	v_add_co_u32_e32 v6, vcc, s8, v4
	v_addc_co_u32_e32 v7, vcc, v0, v5, vcc
	global_store_dword v[6:7], v1, off
	v_mov_b32_e32 v1, s40
	v_add_co_u32_e32 v0, vcc, s39, v4
	v_addc_co_u32_e32 v1, vcc, v1, v5, vcc
	v_mov_b32_e32 v4, s6
	global_store_dword v[0:1], v4, off
	v_lshlrev_b64 v[0:1], 3, v[2:3]
	v_mov_b32_e32 v3, s38
	v_add_co_u32_e32 v2, vcc, s33, v0
	s_lshl_b64 s[4:5], s[18:19], 6
	v_addc_co_u32_e32 v3, vcc, v3, v1, vcc
	s_sub_u32 s4, s45, s4
	global_store_dwordx2 v[2:3], v[26:27], off
	v_mov_b32_e32 v3, s42
	v_add_co_u32_e32 v2, vcc, s41, v0
	s_subb_u32 s5, s46, s5
	v_addc_co_u32_e32 v3, vcc, v3, v1, vcc
	v_pk_mov_b32 v[4:5], s[26:27], s[26:27] op_sel:[0,1]
	global_store_dwordx2 v[2:3], v[4:5], off
	v_mov_b32_e32 v2, s5
	v_add_co_u32_e32 v0, vcc, s4, v0
	v_addc_co_u32_e32 v1, vcc, v2, v1, vcc
	v_pk_mov_b32 v[2:3], s[22:23], s[22:23] op_sel:[0,1]
	global_store_dwordx2 v[0:1], v[2:3], off
.LBB43_75:
	s_or_b64 exec, exec, s[2:3]
	s_barrier
	s_and_saveexec_b64 s[2:3], s[0:1]
	s_cbranch_execz .LBB43_77
; %bb.76:
	s_add_u32 s0, s33, s20
	s_addc_u32 s1, s38, s21
	v_mov_b32_e32 v0, 0
	v_mov_b32_e32 v1, 0x7ff80000
	global_store_dwordx2 v0, v[0:1], s[0:1]
.LBB43_77:
	s_endpgm
	.section	.rodata,"a",@progbits
	.p2align	6, 0x0
	.amdhsa_kernel _ZN9rocsolver6v33100L31stedc_mergeValues_SortDZ_kernelIdEEviiPT_lS3_Pi
		.amdhsa_group_segment_fixed_size 4096
		.amdhsa_private_segment_fixed_size 0
		.amdhsa_kernarg_size 296
		.amdhsa_user_sgpr_count 6
		.amdhsa_user_sgpr_private_segment_buffer 1
		.amdhsa_user_sgpr_dispatch_ptr 0
		.amdhsa_user_sgpr_queue_ptr 0
		.amdhsa_user_sgpr_kernarg_segment_ptr 1
		.amdhsa_user_sgpr_dispatch_id 0
		.amdhsa_user_sgpr_flat_scratch_init 0
		.amdhsa_user_sgpr_kernarg_preload_length 0
		.amdhsa_user_sgpr_kernarg_preload_offset 0
		.amdhsa_user_sgpr_private_segment_size 0
		.amdhsa_uses_dynamic_stack 0
		.amdhsa_system_sgpr_private_segment_wavefront_offset 0
		.amdhsa_system_sgpr_workgroup_id_x 1
		.amdhsa_system_sgpr_workgroup_id_y 1
		.amdhsa_system_sgpr_workgroup_id_z 0
		.amdhsa_system_sgpr_workgroup_info 0
		.amdhsa_system_vgpr_workitem_id 0
		.amdhsa_next_free_vgpr 36
		.amdhsa_next_free_sgpr 63
		.amdhsa_accum_offset 36
		.amdhsa_reserve_vcc 1
		.amdhsa_reserve_flat_scratch 0
		.amdhsa_float_round_mode_32 0
		.amdhsa_float_round_mode_16_64 0
		.amdhsa_float_denorm_mode_32 3
		.amdhsa_float_denorm_mode_16_64 3
		.amdhsa_dx10_clamp 1
		.amdhsa_ieee_mode 1
		.amdhsa_fp16_overflow 0
		.amdhsa_tg_split 0
		.amdhsa_exception_fp_ieee_invalid_op 0
		.amdhsa_exception_fp_denorm_src 0
		.amdhsa_exception_fp_ieee_div_zero 0
		.amdhsa_exception_fp_ieee_overflow 0
		.amdhsa_exception_fp_ieee_underflow 0
		.amdhsa_exception_fp_ieee_inexact 0
		.amdhsa_exception_int_div_zero 0
	.end_amdhsa_kernel
	.section	.text._ZN9rocsolver6v33100L31stedc_mergeValues_SortDZ_kernelIdEEviiPT_lS3_Pi,"axG",@progbits,_ZN9rocsolver6v33100L31stedc_mergeValues_SortDZ_kernelIdEEviiPT_lS3_Pi,comdat
.Lfunc_end43:
	.size	_ZN9rocsolver6v33100L31stedc_mergeValues_SortDZ_kernelIdEEviiPT_lS3_Pi, .Lfunc_end43-_ZN9rocsolver6v33100L31stedc_mergeValues_SortDZ_kernelIdEEviiPT_lS3_Pi
                                        ; -- End function
	.section	.AMDGPU.csdata,"",@progbits
; Kernel info:
; codeLenInByte = 3240
; NumSgprs: 67
; NumVgprs: 36
; NumAgprs: 0
; TotalNumVgprs: 36
; ScratchSize: 0
; MemoryBound: 0
; FloatMode: 240
; IeeeMode: 1
; LDSByteSize: 4096 bytes/workgroup (compile time only)
; SGPRBlocks: 8
; VGPRBlocks: 4
; NumSGPRsForWavesPerEU: 67
; NumVGPRsForWavesPerEU: 36
; AccumOffset: 36
; Occupancy: 8
; WaveLimiterHint : 1
; COMPUTE_PGM_RSRC2:SCRATCH_EN: 0
; COMPUTE_PGM_RSRC2:USER_SGPR: 6
; COMPUTE_PGM_RSRC2:TRAP_HANDLER: 0
; COMPUTE_PGM_RSRC2:TGID_X_EN: 1
; COMPUTE_PGM_RSRC2:TGID_Y_EN: 1
; COMPUTE_PGM_RSRC2:TGID_Z_EN: 0
; COMPUTE_PGM_RSRC2:TIDIG_COMP_CNT: 0
; COMPUTE_PGM_RSRC3_GFX90A:ACCUM_OFFSET: 8
; COMPUTE_PGM_RSRC3_GFX90A:TG_SPLIT: 0
	.section	.text._ZN9rocsolver6v33100L30stedc_mergeValues_copyD_kernelIdEEviiPT_lS3_S3_Pi,"axG",@progbits,_ZN9rocsolver6v33100L30stedc_mergeValues_copyD_kernelIdEEviiPT_lS3_S3_Pi,comdat
	.globl	_ZN9rocsolver6v33100L30stedc_mergeValues_copyD_kernelIdEEviiPT_lS3_S3_Pi ; -- Begin function _ZN9rocsolver6v33100L30stedc_mergeValues_copyD_kernelIdEEviiPT_lS3_S3_Pi
	.p2align	8
	.type	_ZN9rocsolver6v33100L30stedc_mergeValues_copyD_kernelIdEEviiPT_lS3_S3_Pi,@function
_ZN9rocsolver6v33100L30stedc_mergeValues_copyD_kernelIdEEviiPT_lS3_S3_Pi: ; @_ZN9rocsolver6v33100L30stedc_mergeValues_copyD_kernelIdEEviiPT_lS3_S3_Pi
; %bb.0:
	s_load_dword s2, s[4:5], 0x4
	s_load_dwordx8 s[8:15], s[4:5], 0x8
	s_load_dwordx2 s[16:17], s[4:5], 0x28
	s_load_dword s20, s[4:5], 0x3c
	s_mov_b32 s0, s7
	s_waitcnt lgkmcnt(0)
	s_mul_i32 s1, s7, s2
	s_mul_i32 s4, s1, 13
	s_ashr_i32 s5, s4, 31
	s_lshl_b64 s[4:5], s[4:5], 2
	s_add_u32 s3, s16, s4
	s_mul_i32 s4, s2, 7
	s_addc_u32 s7, s17, s5
	s_ashr_i32 s5, s4, 31
	s_lshl_b64 s[16:17], s[4:5], 2
	s_add_u32 s21, s3, s16
	s_mul_i32 s16, s1, 10
	s_addc_u32 s22, s7, s17
	s_ashr_i32 s3, s2, 31
	s_ashr_i32 s17, s16, 31
	s_lshl_b64 s[18:19], s[2:3], 2
	s_lshl_b64 s[16:17], s[16:17], 3
	s_add_u32 s3, s12, s16
	s_addc_u32 s7, s13, s17
	s_lshl_b64 s[4:5], s[4:5], 3
	s_add_u32 s3, s3, s4
	s_addc_u32 s16, s7, s5
	s_ashr_i32 s7, s6, 31
	s_lshl_b64 s[4:5], s[6:7], 2
	s_add_u32 s4, s21, s4
	s_addc_u32 s5, s22, s5
	s_sub_u32 s18, s4, s18
	s_subb_u32 s19, s5, s19
	s_load_dword s7, s[4:5], 0x0
	s_load_dword s12, s[18:19], 0x0
	s_and_b32 s13, s20, 0xffff
	s_mul_i32 s4, s6, s13
	v_add_u32_e32 v2, s4, v0
	v_cmp_gt_i32_e32 vcc, s2, v2
	s_and_saveexec_b64 s[4:5], vcc
	s_cbranch_execz .LBB44_2
; %bb.1:
	s_mul_i32 s18, s2, 0xffffffd0
	s_mul_hi_i32 s17, s2, 0xffffffd0
	s_add_u32 s18, s3, s18
	v_ashrrev_i32_e32 v3, 31, v2
	s_addc_u32 s17, s16, s17
	v_lshlrev_b64 v[2:3], 3, v[2:3]
	v_mov_b32_e32 v1, s17
	v_add_co_u32_e32 v4, vcc, s18, v2
	v_addc_co_u32_e32 v5, vcc, v1, v3, vcc
	global_load_dwordx2 v[4:5], v[4:5], off
	s_ashr_i32 s17, s0, 31
	s_mul_i32 s11, s0, s11
	s_mul_hi_u32 s18, s0, s10
	s_add_i32 s11, s18, s11
	s_mul_i32 s17, s17, s10
	s_add_i32 s11, s11, s17
	s_mul_i32 s10, s0, s10
	s_lshl_b64 s[10:11], s[10:11], 3
	s_add_u32 s0, s8, s10
	s_addc_u32 s8, s9, s11
	v_mov_b32_e32 v1, s8
	v_add_co_u32_e32 v2, vcc, s0, v2
	v_addc_co_u32_e32 v3, vcc, v1, v3, vcc
	s_waitcnt vmcnt(0)
	global_store_dwordx2 v[2:3], v[4:5], off
.LBB44_2:
	s_or_b64 exec, exec, s[4:5]
	s_waitcnt lgkmcnt(0)
	v_cmp_gt_i32_e32 vcc, s7, v0
	s_and_saveexec_b64 s[4:5], vcc
	s_cbranch_execz .LBB44_5
; %bb.3:
	s_mul_i32 s1, s1, s2
	s_lshl_b32 s0, s1, 1
	s_ashr_i32 s1, s0, 31
	s_lshl_b64 s[0:1], s[0:1], 3
	s_add_u32 s4, s14, s0
	s_addc_u32 s5, s15, s1
	s_mul_i32 s0, s2, s2
	s_mov_b32 s1, 0
	s_lshl_b64 s[0:1], s[0:1], 3
	s_add_u32 s4, s4, s0
	s_addc_u32 s5, s5, s1
	s_mul_i32 s2, s6, s2
	s_mov_b64 s[0:1], 0
	v_mov_b32_e32 v1, s16
	v_mov_b32_e32 v2, s5
.LBB44_4:                               ; =>This Inner Loop Header: Depth=1
	v_add_u32_e32 v4, s12, v0
	v_ashrrev_i32_e32 v5, 31, v4
	v_lshlrev_b64 v[4:5], 3, v[4:5]
	v_add_co_u32_e32 v4, vcc, s3, v4
	v_addc_co_u32_e32 v5, vcc, v1, v5, vcc
	global_load_dwordx2 v[4:5], v[4:5], off
	v_add_u32_e32 v6, s2, v0
	v_add_u32_e32 v0, s13, v0
	v_ashrrev_i32_e32 v7, 31, v6
	v_cmp_le_i32_e32 vcc, s7, v0
	v_lshlrev_b64 v[6:7], 3, v[6:7]
	s_or_b64 s[0:1], vcc, s[0:1]
	v_add_co_u32_e32 v6, vcc, s4, v6
	v_addc_co_u32_e32 v7, vcc, v2, v7, vcc
	s_waitcnt vmcnt(0)
	global_store_dwordx2 v[6:7], v[4:5], off
	s_andn2_b64 exec, exec, s[0:1]
	s_cbranch_execnz .LBB44_4
.LBB44_5:
	s_endpgm
	.section	.rodata,"a",@progbits
	.p2align	6, 0x0
	.amdhsa_kernel _ZN9rocsolver6v33100L30stedc_mergeValues_copyD_kernelIdEEviiPT_lS3_S3_Pi
		.amdhsa_group_segment_fixed_size 0
		.amdhsa_private_segment_fixed_size 0
		.amdhsa_kernarg_size 304
		.amdhsa_user_sgpr_count 6
		.amdhsa_user_sgpr_private_segment_buffer 1
		.amdhsa_user_sgpr_dispatch_ptr 0
		.amdhsa_user_sgpr_queue_ptr 0
		.amdhsa_user_sgpr_kernarg_segment_ptr 1
		.amdhsa_user_sgpr_dispatch_id 0
		.amdhsa_user_sgpr_flat_scratch_init 0
		.amdhsa_user_sgpr_kernarg_preload_length 0
		.amdhsa_user_sgpr_kernarg_preload_offset 0
		.amdhsa_user_sgpr_private_segment_size 0
		.amdhsa_uses_dynamic_stack 0
		.amdhsa_system_sgpr_private_segment_wavefront_offset 0
		.amdhsa_system_sgpr_workgroup_id_x 1
		.amdhsa_system_sgpr_workgroup_id_y 1
		.amdhsa_system_sgpr_workgroup_id_z 0
		.amdhsa_system_sgpr_workgroup_info 0
		.amdhsa_system_vgpr_workitem_id 0
		.amdhsa_next_free_vgpr 8
		.amdhsa_next_free_sgpr 23
		.amdhsa_accum_offset 8
		.amdhsa_reserve_vcc 1
		.amdhsa_reserve_flat_scratch 0
		.amdhsa_float_round_mode_32 0
		.amdhsa_float_round_mode_16_64 0
		.amdhsa_float_denorm_mode_32 3
		.amdhsa_float_denorm_mode_16_64 3
		.amdhsa_dx10_clamp 1
		.amdhsa_ieee_mode 1
		.amdhsa_fp16_overflow 0
		.amdhsa_tg_split 0
		.amdhsa_exception_fp_ieee_invalid_op 0
		.amdhsa_exception_fp_denorm_src 0
		.amdhsa_exception_fp_ieee_div_zero 0
		.amdhsa_exception_fp_ieee_overflow 0
		.amdhsa_exception_fp_ieee_underflow 0
		.amdhsa_exception_fp_ieee_inexact 0
		.amdhsa_exception_int_div_zero 0
	.end_amdhsa_kernel
	.section	.text._ZN9rocsolver6v33100L30stedc_mergeValues_copyD_kernelIdEEviiPT_lS3_S3_Pi,"axG",@progbits,_ZN9rocsolver6v33100L30stedc_mergeValues_copyD_kernelIdEEviiPT_lS3_S3_Pi,comdat
.Lfunc_end44:
	.size	_ZN9rocsolver6v33100L30stedc_mergeValues_copyD_kernelIdEEviiPT_lS3_S3_Pi, .Lfunc_end44-_ZN9rocsolver6v33100L30stedc_mergeValues_copyD_kernelIdEEviiPT_lS3_S3_Pi
                                        ; -- End function
	.section	.AMDGPU.csdata,"",@progbits
; Kernel info:
; codeLenInByte = 484
; NumSgprs: 27
; NumVgprs: 8
; NumAgprs: 0
; TotalNumVgprs: 8
; ScratchSize: 0
; MemoryBound: 0
; FloatMode: 240
; IeeeMode: 1
; LDSByteSize: 0 bytes/workgroup (compile time only)
; SGPRBlocks: 3
; VGPRBlocks: 0
; NumSGPRsForWavesPerEU: 27
; NumVGPRsForWavesPerEU: 8
; AccumOffset: 8
; Occupancy: 8
; WaveLimiterHint : 1
; COMPUTE_PGM_RSRC2:SCRATCH_EN: 0
; COMPUTE_PGM_RSRC2:USER_SGPR: 6
; COMPUTE_PGM_RSRC2:TRAP_HANDLER: 0
; COMPUTE_PGM_RSRC2:TGID_X_EN: 1
; COMPUTE_PGM_RSRC2:TGID_Y_EN: 1
; COMPUTE_PGM_RSRC2:TGID_Z_EN: 0
; COMPUTE_PGM_RSRC2:TIDIG_COMP_CNT: 0
; COMPUTE_PGM_RSRC3_GFX90A:ACCUM_OFFSET: 1
; COMPUTE_PGM_RSRC3_GFX90A:TG_SPLIT: 0
	.section	.text._ZN9rocsolver6v33100L11stedc_copyCIdPdS2_EEviT0_iilT1_iil,"axG",@progbits,_ZN9rocsolver6v33100L11stedc_copyCIdPdS2_EEviT0_iilT1_iil,comdat
	.globl	_ZN9rocsolver6v33100L11stedc_copyCIdPdS2_EEviT0_iilT1_iil ; -- Begin function _ZN9rocsolver6v33100L11stedc_copyCIdPdS2_EEviT0_iilT1_iil
	.p2align	8
	.type	_ZN9rocsolver6v33100L11stedc_copyCIdPdS2_EEviT0_iilT1_iil,@function
_ZN9rocsolver6v33100L11stedc_copyCIdPdS2_EEviT0_iilT1_iil: ; @_ZN9rocsolver6v33100L11stedc_copyCIdPdS2_EEviT0_iilT1_iil
; %bb.0:
	s_load_dword s0, s[4:5], 0x44
	s_load_dword s37, s[4:5], 0x0
	s_waitcnt lgkmcnt(0)
	s_and_b32 s33, s0, 0xffff
	s_lshl_b32 s36, s33, 4
	v_cvt_f32_u32_e32 v1, s36
	s_sub_i32 s2, 0, s36
	s_add_i32 s0, s37, -1
	s_ashr_i32 s1, s0, 31
	v_rcp_iflag_f32_e32 v1, v1
	s_abs_i32 s0, s0
	v_mul_f32_e32 v1, 0x4f7ffffe, v1
	v_cvt_u32_f32_e32 v1, v1
	v_readfirstlane_b32 s3, v1
	s_mul_i32 s2, s2, s3
	s_mul_hi_u32 s2, s3, s2
	s_add_i32 s3, s3, s2
	s_mul_hi_u32 s2, s0, s3
	s_mul_i32 s3, s2, s36
	s_sub_i32 s0, s0, s3
	s_add_i32 s8, s2, 1
	s_sub_i32 s3, s0, s36
	s_cmp_ge_u32 s0, s36
	s_cselect_b32 s2, s8, s2
	s_cselect_b32 s0, s3, s0
	s_add_i32 s3, s2, 1
	s_cmp_ge_u32 s0, s36
	s_cselect_b32 s0, s3, s2
	s_xor_b32 s0, s0, s1
	s_sub_i32 s16, s0, s1
	s_cmp_lt_i32 s16, 0
	s_cbranch_scc1 .LBB45_67
; %bb.1:
	s_load_dwordx8 s[8:15], s[4:5], 0x8
	s_load_dwordx4 s[0:3], s[4:5], 0x28
	s_ashr_i32 s17, s7, 31
	s_mul_i32 s44, s33, 3
	s_mul_i32 s46, s33, 5
	s_waitcnt lgkmcnt(0)
	s_ashr_i32 s5, s10, 31
	s_mov_b32 s4, s10
	s_mul_i32 s10, s7, s13
	s_mul_hi_u32 s13, s7, s12
	s_add_i32 s10, s13, s10
	s_mul_i32 s13, s17, s12
	s_add_i32 s13, s10, s13
	s_mul_i32 s12, s7, s12
	s_lshl_b64 s[12:13], s[12:13], 3
	s_add_u32 s8, s8, s12
	s_addc_u32 s9, s9, s13
	s_lshl_b64 s[4:5], s[4:5], 3
	s_add_u32 s8, s8, s4
	s_addc_u32 s9, s9, s5
	s_ashr_i32 s5, s0, 31
	s_mov_b32 s4, s0
	s_mul_i32 s0, s7, s3
	s_mul_hi_u32 s3, s7, s2
	s_add_i32 s0, s3, s0
	s_mul_i32 s17, s17, s2
	s_add_i32 s3, s0, s17
	s_mul_i32 s2, s7, s2
	s_lshl_b64 s[2:3], s[2:3], 3
	s_add_u32 s0, s14, s2
	s_addc_u32 s7, s15, s3
	s_lshl_b64 s[2:3], s[4:5], 3
	s_add_u32 s4, s0, s2
	s_mul_i32 s2, s6, s11
	s_addc_u32 s5, s7, s3
	s_ashr_i32 s3, s2, 31
	s_lshl_b64 s[2:3], s[2:3], 3
	s_add_u32 s38, s8, s2
	s_mul_i32 s0, s6, s1
	s_addc_u32 s39, s9, s3
	s_ashr_i32 s1, s0, 31
	s_lshl_b64 s[0:1], s[0:1], 3
	s_add_u32 s40, s4, s0
	s_addc_u32 s41, s5, s1
	s_add_i32 s42, s16, 1
	s_lshl_b32 s43, s33, 1
	s_lshl_b32 s45, s33, 2
	s_mul_i32 s47, s33, 6
	s_mul_i32 s48, s33, 7
	s_lshl_b32 s49, s33, 3
	s_mul_i32 s50, s33, 9
	s_mul_i32 s51, s33, 10
	;; [unrolled: 1-line block ×7, first 2 shown]
                                        ; implicit-def: $vgpr2_vgpr3_vgpr4_vgpr5_vgpr6_vgpr7_vgpr8_vgpr9_vgpr10_vgpr11_vgpr12_vgpr13_vgpr14_vgpr15_vgpr16_vgpr17_vgpr18_vgpr19_vgpr20_vgpr21_vgpr22_vgpr23_vgpr24_vgpr25_vgpr26_vgpr27_vgpr28_vgpr29_vgpr30_vgpr31_vgpr32_vgpr33
	s_branch .LBB45_3
.LBB45_2:                               ;   in Loop: Header=BB45_3 Depth=1
	s_or_b64 exec, exec, s[0:1]
	s_add_i32 s42, s42, -1
	s_cmp_eq_u32 s42, 0
	v_add_u32_e32 v0, s36, v0
	s_cbranch_scc1 .LBB45_67
.LBB45_3:                               ; =>This Inner Loop Header: Depth=1
	v_cmp_gt_i32_e32 vcc, s37, v0
	v_ashrrev_i32_e32 v1, 31, v0
	s_and_saveexec_b64 s[2:3], vcc
	s_cbranch_execz .LBB45_5
; %bb.4:                                ;   in Loop: Header=BB45_3 Depth=1
	s_waitcnt vmcnt(0)
	v_lshlrev_b64 v[2:3], 3, v[0:1]
	v_mov_b32_e32 v34, s39
	v_add_co_u32_e64 v2, s[0:1], s38, v2
	v_addc_co_u32_e64 v3, s[0:1], v34, v3, s[0:1]
	global_load_dwordx2 v[2:3], v[2:3], off
.LBB45_5:                               ;   in Loop: Header=BB45_3 Depth=1
	s_or_b64 exec, exec, s[2:3]
	v_add_u32_e32 v34, s33, v0
	v_cmp_gt_i32_e64 s[0:1], s37, v34
	v_ashrrev_i32_e32 v35, 31, v34
	s_and_saveexec_b64 s[4:5], s[0:1]
	s_cbranch_execz .LBB45_7
; %bb.6:                                ;   in Loop: Header=BB45_3 Depth=1
	s_waitcnt vmcnt(0)
	v_lshlrev_b64 v[4:5], 3, v[34:35]
	v_mov_b32_e32 v36, s39
	v_add_co_u32_e64 v4, s[2:3], s38, v4
	v_addc_co_u32_e64 v5, s[2:3], v36, v5, s[2:3]
	global_load_dwordx2 v[4:5], v[4:5], off
.LBB45_7:                               ;   in Loop: Header=BB45_3 Depth=1
	s_or_b64 exec, exec, s[4:5]
	v_add_u32_e32 v36, s43, v0
	v_add_u32_e32 v39, s33, v34
	v_cmp_gt_i32_e64 s[2:3], s37, v39
	v_ashrrev_i32_e32 v37, 31, v36
	s_and_saveexec_b64 s[6:7], s[2:3]
	s_cbranch_execz .LBB45_9
; %bb.8:                                ;   in Loop: Header=BB45_3 Depth=1
	s_waitcnt vmcnt(0)
	v_lshlrev_b64 v[6:7], 3, v[36:37]
	v_mov_b32_e32 v38, s39
	v_add_co_u32_e64 v6, s[4:5], s38, v6
	v_addc_co_u32_e64 v7, s[4:5], v38, v7, s[4:5]
	global_load_dwordx2 v[6:7], v[6:7], off
.LBB45_9:                               ;   in Loop: Header=BB45_3 Depth=1
	s_or_b64 exec, exec, s[6:7]
	v_add_u32_e32 v38, s44, v0
	v_add_u32_e32 v41, s33, v39
	v_cmp_gt_i32_e64 s[4:5], s37, v41
	v_ashrrev_i32_e32 v39, 31, v38
	s_and_saveexec_b64 s[8:9], s[4:5]
	s_cbranch_execz .LBB45_11
; %bb.10:                               ;   in Loop: Header=BB45_3 Depth=1
	s_waitcnt vmcnt(0)
	v_lshlrev_b64 v[8:9], 3, v[38:39]
	v_mov_b32_e32 v40, s39
	v_add_co_u32_e64 v8, s[6:7], s38, v8
	v_addc_co_u32_e64 v9, s[6:7], v40, v9, s[6:7]
	global_load_dwordx2 v[8:9], v[8:9], off
.LBB45_11:                              ;   in Loop: Header=BB45_3 Depth=1
	s_or_b64 exec, exec, s[8:9]
	v_add_u32_e32 v40, s45, v0
	v_add_u32_e32 v43, s33, v41
	v_cmp_gt_i32_e64 s[6:7], s37, v43
	v_ashrrev_i32_e32 v41, 31, v40
	s_and_saveexec_b64 s[10:11], s[6:7]
	s_cbranch_execz .LBB45_13
; %bb.12:                               ;   in Loop: Header=BB45_3 Depth=1
	s_waitcnt vmcnt(0)
	v_lshlrev_b64 v[10:11], 3, v[40:41]
	v_mov_b32_e32 v42, s39
	v_add_co_u32_e64 v10, s[8:9], s38, v10
	v_addc_co_u32_e64 v11, s[8:9], v42, v11, s[8:9]
	global_load_dwordx2 v[10:11], v[10:11], off
.LBB45_13:                              ;   in Loop: Header=BB45_3 Depth=1
	;; [unrolled: 15-line block ×12, first 2 shown]
	s_or_b64 exec, exec, s[30:31]
	v_add_u32_e32 v62, s56, v0
	v_add_u32_e32 v63, s33, v63
	v_cmp_gt_i32_e64 s[28:29], s37, v63
	v_ashrrev_i32_e32 v63, 31, v62
	s_and_saveexec_b64 s[34:35], s[28:29]
	s_cbranch_execnz .LBB45_50
; %bb.34:                               ;   in Loop: Header=BB45_3 Depth=1
	s_or_b64 exec, exec, s[34:35]
	s_and_saveexec_b64 s[30:31], vcc
	s_cbranch_execnz .LBB45_51
.LBB45_35:                              ;   in Loop: Header=BB45_3 Depth=1
	s_or_b64 exec, exec, s[30:31]
	s_and_saveexec_b64 s[30:31], s[0:1]
	s_cbranch_execnz .LBB45_52
.LBB45_36:                              ;   in Loop: Header=BB45_3 Depth=1
	s_or_b64 exec, exec, s[30:31]
	s_and_saveexec_b64 s[0:1], s[2:3]
	s_cbranch_execnz .LBB45_53
.LBB45_37:                              ;   in Loop: Header=BB45_3 Depth=1
	s_or_b64 exec, exec, s[0:1]
	s_and_saveexec_b64 s[0:1], s[4:5]
	s_cbranch_execnz .LBB45_54
.LBB45_38:                              ;   in Loop: Header=BB45_3 Depth=1
	s_or_b64 exec, exec, s[0:1]
	s_and_saveexec_b64 s[0:1], s[6:7]
	s_cbranch_execnz .LBB45_55
.LBB45_39:                              ;   in Loop: Header=BB45_3 Depth=1
	s_or_b64 exec, exec, s[0:1]
	s_and_saveexec_b64 s[0:1], s[8:9]
	s_cbranch_execnz .LBB45_56
.LBB45_40:                              ;   in Loop: Header=BB45_3 Depth=1
	s_or_b64 exec, exec, s[0:1]
	s_and_saveexec_b64 s[0:1], s[10:11]
	s_cbranch_execnz .LBB45_57
.LBB45_41:                              ;   in Loop: Header=BB45_3 Depth=1
	s_or_b64 exec, exec, s[0:1]
	s_and_saveexec_b64 s[0:1], s[12:13]
	s_cbranch_execnz .LBB45_58
.LBB45_42:                              ;   in Loop: Header=BB45_3 Depth=1
	s_or_b64 exec, exec, s[0:1]
	s_and_saveexec_b64 s[0:1], s[14:15]
	s_cbranch_execnz .LBB45_59
.LBB45_43:                              ;   in Loop: Header=BB45_3 Depth=1
	s_or_b64 exec, exec, s[0:1]
	s_and_saveexec_b64 s[0:1], s[16:17]
	s_cbranch_execnz .LBB45_60
.LBB45_44:                              ;   in Loop: Header=BB45_3 Depth=1
	s_or_b64 exec, exec, s[0:1]
	s_and_saveexec_b64 s[0:1], s[18:19]
	s_cbranch_execnz .LBB45_61
.LBB45_45:                              ;   in Loop: Header=BB45_3 Depth=1
	s_or_b64 exec, exec, s[0:1]
	s_and_saveexec_b64 s[0:1], s[20:21]
	s_cbranch_execnz .LBB45_62
.LBB45_46:                              ;   in Loop: Header=BB45_3 Depth=1
	s_or_b64 exec, exec, s[0:1]
	s_and_saveexec_b64 s[0:1], s[22:23]
	s_cbranch_execnz .LBB45_63
.LBB45_47:                              ;   in Loop: Header=BB45_3 Depth=1
	s_or_b64 exec, exec, s[0:1]
	s_and_saveexec_b64 s[0:1], s[24:25]
	s_cbranch_execnz .LBB45_64
.LBB45_48:                              ;   in Loop: Header=BB45_3 Depth=1
	s_or_b64 exec, exec, s[0:1]
	s_and_saveexec_b64 s[0:1], s[26:27]
	s_cbranch_execnz .LBB45_65
.LBB45_49:                              ;   in Loop: Header=BB45_3 Depth=1
	s_or_b64 exec, exec, s[0:1]
	s_and_saveexec_b64 s[0:1], s[28:29]
	s_cbranch_execz .LBB45_2
	s_branch .LBB45_66
.LBB45_50:                              ;   in Loop: Header=BB45_3 Depth=1
	s_waitcnt vmcnt(0)
	v_lshlrev_b64 v[32:33], 3, v[62:63]
	v_mov_b32_e32 v64, s39
	v_add_co_u32_e64 v32, s[30:31], s38, v32
	v_addc_co_u32_e64 v33, s[30:31], v64, v33, s[30:31]
	global_load_dwordx2 v[32:33], v[32:33], off
	s_or_b64 exec, exec, s[34:35]
	s_and_saveexec_b64 s[30:31], vcc
	s_cbranch_execz .LBB45_35
.LBB45_51:                              ;   in Loop: Header=BB45_3 Depth=1
	v_lshlrev_b64 v[64:65], 3, v[0:1]
	v_mov_b32_e32 v1, s41
	v_add_co_u32_e32 v64, vcc, s40, v64
	v_addc_co_u32_e32 v65, vcc, v1, v65, vcc
	s_waitcnt vmcnt(0)
	global_store_dwordx2 v[64:65], v[2:3], off
	s_or_b64 exec, exec, s[30:31]
	s_and_saveexec_b64 s[30:31], s[0:1]
	s_cbranch_execz .LBB45_36
.LBB45_52:                              ;   in Loop: Header=BB45_3 Depth=1
	v_lshlrev_b64 v[34:35], 3, v[34:35]
	v_mov_b32_e32 v1, s41
	v_add_co_u32_e32 v34, vcc, s40, v34
	v_addc_co_u32_e32 v35, vcc, v1, v35, vcc
	s_waitcnt vmcnt(0)
	global_store_dwordx2 v[34:35], v[4:5], off
	s_or_b64 exec, exec, s[30:31]
	s_and_saveexec_b64 s[0:1], s[2:3]
	s_cbranch_execz .LBB45_37
.LBB45_53:                              ;   in Loop: Header=BB45_3 Depth=1
	v_lshlrev_b64 v[34:35], 3, v[36:37]
	v_mov_b32_e32 v1, s41
	v_add_co_u32_e32 v34, vcc, s40, v34
	v_addc_co_u32_e32 v35, vcc, v1, v35, vcc
	s_waitcnt vmcnt(0)
	global_store_dwordx2 v[34:35], v[6:7], off
	s_or_b64 exec, exec, s[0:1]
	s_and_saveexec_b64 s[0:1], s[4:5]
	s_cbranch_execz .LBB45_38
.LBB45_54:                              ;   in Loop: Header=BB45_3 Depth=1
	v_lshlrev_b64 v[34:35], 3, v[38:39]
	v_mov_b32_e32 v1, s41
	v_add_co_u32_e32 v34, vcc, s40, v34
	v_addc_co_u32_e32 v35, vcc, v1, v35, vcc
	s_waitcnt vmcnt(0)
	global_store_dwordx2 v[34:35], v[8:9], off
	s_or_b64 exec, exec, s[0:1]
	s_and_saveexec_b64 s[0:1], s[6:7]
	s_cbranch_execz .LBB45_39
.LBB45_55:                              ;   in Loop: Header=BB45_3 Depth=1
	v_lshlrev_b64 v[34:35], 3, v[40:41]
	v_mov_b32_e32 v1, s41
	v_add_co_u32_e32 v34, vcc, s40, v34
	v_addc_co_u32_e32 v35, vcc, v1, v35, vcc
	s_waitcnt vmcnt(0)
	global_store_dwordx2 v[34:35], v[10:11], off
	s_or_b64 exec, exec, s[0:1]
	s_and_saveexec_b64 s[0:1], s[8:9]
	s_cbranch_execz .LBB45_40
.LBB45_56:                              ;   in Loop: Header=BB45_3 Depth=1
	v_lshlrev_b64 v[34:35], 3, v[42:43]
	v_mov_b32_e32 v1, s41
	v_add_co_u32_e32 v34, vcc, s40, v34
	v_addc_co_u32_e32 v35, vcc, v1, v35, vcc
	s_waitcnt vmcnt(0)
	global_store_dwordx2 v[34:35], v[12:13], off
	s_or_b64 exec, exec, s[0:1]
	s_and_saveexec_b64 s[0:1], s[10:11]
	s_cbranch_execz .LBB45_41
.LBB45_57:                              ;   in Loop: Header=BB45_3 Depth=1
	v_lshlrev_b64 v[34:35], 3, v[44:45]
	v_mov_b32_e32 v1, s41
	v_add_co_u32_e32 v34, vcc, s40, v34
	v_addc_co_u32_e32 v35, vcc, v1, v35, vcc
	s_waitcnt vmcnt(0)
	global_store_dwordx2 v[34:35], v[14:15], off
	s_or_b64 exec, exec, s[0:1]
	s_and_saveexec_b64 s[0:1], s[12:13]
	s_cbranch_execz .LBB45_42
.LBB45_58:                              ;   in Loop: Header=BB45_3 Depth=1
	v_lshlrev_b64 v[34:35], 3, v[46:47]
	v_mov_b32_e32 v1, s41
	v_add_co_u32_e32 v34, vcc, s40, v34
	v_addc_co_u32_e32 v35, vcc, v1, v35, vcc
	s_waitcnt vmcnt(0)
	global_store_dwordx2 v[34:35], v[16:17], off
	s_or_b64 exec, exec, s[0:1]
	s_and_saveexec_b64 s[0:1], s[14:15]
	s_cbranch_execz .LBB45_43
.LBB45_59:                              ;   in Loop: Header=BB45_3 Depth=1
	v_lshlrev_b64 v[34:35], 3, v[48:49]
	v_mov_b32_e32 v1, s41
	v_add_co_u32_e32 v34, vcc, s40, v34
	v_addc_co_u32_e32 v35, vcc, v1, v35, vcc
	s_waitcnt vmcnt(0)
	global_store_dwordx2 v[34:35], v[18:19], off
	s_or_b64 exec, exec, s[0:1]
	s_and_saveexec_b64 s[0:1], s[16:17]
	s_cbranch_execz .LBB45_44
.LBB45_60:                              ;   in Loop: Header=BB45_3 Depth=1
	v_lshlrev_b64 v[34:35], 3, v[50:51]
	v_mov_b32_e32 v1, s41
	v_add_co_u32_e32 v34, vcc, s40, v34
	v_addc_co_u32_e32 v35, vcc, v1, v35, vcc
	s_waitcnt vmcnt(0)
	global_store_dwordx2 v[34:35], v[20:21], off
	s_or_b64 exec, exec, s[0:1]
	s_and_saveexec_b64 s[0:1], s[18:19]
	s_cbranch_execz .LBB45_45
.LBB45_61:                              ;   in Loop: Header=BB45_3 Depth=1
	v_lshlrev_b64 v[34:35], 3, v[52:53]
	v_mov_b32_e32 v1, s41
	v_add_co_u32_e32 v34, vcc, s40, v34
	v_addc_co_u32_e32 v35, vcc, v1, v35, vcc
	s_waitcnt vmcnt(0)
	global_store_dwordx2 v[34:35], v[22:23], off
	s_or_b64 exec, exec, s[0:1]
	s_and_saveexec_b64 s[0:1], s[20:21]
	s_cbranch_execz .LBB45_46
.LBB45_62:                              ;   in Loop: Header=BB45_3 Depth=1
	v_lshlrev_b64 v[34:35], 3, v[54:55]
	v_mov_b32_e32 v1, s41
	v_add_co_u32_e32 v34, vcc, s40, v34
	v_addc_co_u32_e32 v35, vcc, v1, v35, vcc
	s_waitcnt vmcnt(0)
	global_store_dwordx2 v[34:35], v[24:25], off
	s_or_b64 exec, exec, s[0:1]
	s_and_saveexec_b64 s[0:1], s[22:23]
	s_cbranch_execz .LBB45_47
.LBB45_63:                              ;   in Loop: Header=BB45_3 Depth=1
	v_lshlrev_b64 v[34:35], 3, v[56:57]
	v_mov_b32_e32 v1, s41
	v_add_co_u32_e32 v34, vcc, s40, v34
	v_addc_co_u32_e32 v35, vcc, v1, v35, vcc
	s_waitcnt vmcnt(0)
	global_store_dwordx2 v[34:35], v[26:27], off
	s_or_b64 exec, exec, s[0:1]
	s_and_saveexec_b64 s[0:1], s[24:25]
	s_cbranch_execz .LBB45_48
.LBB45_64:                              ;   in Loop: Header=BB45_3 Depth=1
	v_lshlrev_b64 v[34:35], 3, v[58:59]
	v_mov_b32_e32 v1, s41
	v_add_co_u32_e32 v34, vcc, s40, v34
	v_addc_co_u32_e32 v35, vcc, v1, v35, vcc
	s_waitcnt vmcnt(0)
	global_store_dwordx2 v[34:35], v[28:29], off
	s_or_b64 exec, exec, s[0:1]
	s_and_saveexec_b64 s[0:1], s[26:27]
	s_cbranch_execz .LBB45_49
.LBB45_65:                              ;   in Loop: Header=BB45_3 Depth=1
	v_lshlrev_b64 v[34:35], 3, v[60:61]
	v_mov_b32_e32 v1, s41
	v_add_co_u32_e32 v34, vcc, s40, v34
	v_addc_co_u32_e32 v35, vcc, v1, v35, vcc
	s_waitcnt vmcnt(0)
	global_store_dwordx2 v[34:35], v[30:31], off
	s_or_b64 exec, exec, s[0:1]
	s_and_saveexec_b64 s[0:1], s[28:29]
	s_cbranch_execz .LBB45_2
.LBB45_66:                              ;   in Loop: Header=BB45_3 Depth=1
	v_lshlrev_b64 v[34:35], 3, v[62:63]
	v_mov_b32_e32 v1, s41
	v_add_co_u32_e32 v34, vcc, s40, v34
	v_addc_co_u32_e32 v35, vcc, v1, v35, vcc
	s_waitcnt vmcnt(0)
	global_store_dwordx2 v[34:35], v[32:33], off
	s_branch .LBB45_2
.LBB45_67:
	s_endpgm
	.section	.rodata,"a",@progbits
	.p2align	6, 0x0
	.amdhsa_kernel _ZN9rocsolver6v33100L11stedc_copyCIdPdS2_EEviT0_iilT1_iil
		.amdhsa_group_segment_fixed_size 0
		.amdhsa_private_segment_fixed_size 0
		.amdhsa_kernarg_size 312
		.amdhsa_user_sgpr_count 6
		.amdhsa_user_sgpr_private_segment_buffer 1
		.amdhsa_user_sgpr_dispatch_ptr 0
		.amdhsa_user_sgpr_queue_ptr 0
		.amdhsa_user_sgpr_kernarg_segment_ptr 1
		.amdhsa_user_sgpr_dispatch_id 0
		.amdhsa_user_sgpr_flat_scratch_init 0
		.amdhsa_user_sgpr_kernarg_preload_length 0
		.amdhsa_user_sgpr_kernarg_preload_offset 0
		.amdhsa_user_sgpr_private_segment_size 0
		.amdhsa_uses_dynamic_stack 0
		.amdhsa_system_sgpr_private_segment_wavefront_offset 0
		.amdhsa_system_sgpr_workgroup_id_x 1
		.amdhsa_system_sgpr_workgroup_id_y 1
		.amdhsa_system_sgpr_workgroup_id_z 0
		.amdhsa_system_sgpr_workgroup_info 0
		.amdhsa_system_vgpr_workitem_id 0
		.amdhsa_next_free_vgpr 66
		.amdhsa_next_free_sgpr 57
		.amdhsa_accum_offset 68
		.amdhsa_reserve_vcc 1
		.amdhsa_reserve_flat_scratch 0
		.amdhsa_float_round_mode_32 0
		.amdhsa_float_round_mode_16_64 0
		.amdhsa_float_denorm_mode_32 3
		.amdhsa_float_denorm_mode_16_64 3
		.amdhsa_dx10_clamp 1
		.amdhsa_ieee_mode 1
		.amdhsa_fp16_overflow 0
		.amdhsa_tg_split 0
		.amdhsa_exception_fp_ieee_invalid_op 0
		.amdhsa_exception_fp_denorm_src 0
		.amdhsa_exception_fp_ieee_div_zero 0
		.amdhsa_exception_fp_ieee_overflow 0
		.amdhsa_exception_fp_ieee_underflow 0
		.amdhsa_exception_fp_ieee_inexact 0
		.amdhsa_exception_int_div_zero 0
	.end_amdhsa_kernel
	.section	.text._ZN9rocsolver6v33100L11stedc_copyCIdPdS2_EEviT0_iilT1_iil,"axG",@progbits,_ZN9rocsolver6v33100L11stedc_copyCIdPdS2_EEviT0_iilT1_iil,comdat
.Lfunc_end45:
	.size	_ZN9rocsolver6v33100L11stedc_copyCIdPdS2_EEviT0_iilT1_iil, .Lfunc_end45-_ZN9rocsolver6v33100L11stedc_copyCIdPdS2_EEviT0_iilT1_iil
                                        ; -- End function
	.section	.AMDGPU.csdata,"",@progbits
; Kernel info:
; codeLenInByte = 2444
; NumSgprs: 61
; NumVgprs: 66
; NumAgprs: 0
; TotalNumVgprs: 66
; ScratchSize: 0
; MemoryBound: 0
; FloatMode: 240
; IeeeMode: 1
; LDSByteSize: 0 bytes/workgroup (compile time only)
; SGPRBlocks: 7
; VGPRBlocks: 8
; NumSGPRsForWavesPerEU: 61
; NumVGPRsForWavesPerEU: 66
; AccumOffset: 68
; Occupancy: 7
; WaveLimiterHint : 0
; COMPUTE_PGM_RSRC2:SCRATCH_EN: 0
; COMPUTE_PGM_RSRC2:USER_SGPR: 6
; COMPUTE_PGM_RSRC2:TRAP_HANDLER: 0
; COMPUTE_PGM_RSRC2:TGID_X_EN: 1
; COMPUTE_PGM_RSRC2:TGID_Y_EN: 1
; COMPUTE_PGM_RSRC2:TGID_Z_EN: 0
; COMPUTE_PGM_RSRC2:TIDIG_COMP_CNT: 0
; COMPUTE_PGM_RSRC3_GFX90A:ACCUM_OFFSET: 16
; COMPUTE_PGM_RSRC3_GFX90A:TG_SPLIT: 0
	.section	.text._ZN9rocsolver6v33100L16stedc_reshuffleCIdPdS2_EEviT0_iilT1_iilPi,"axG",@progbits,_ZN9rocsolver6v33100L16stedc_reshuffleCIdPdS2_EEviT0_iilT1_iilPi,comdat
	.globl	_ZN9rocsolver6v33100L16stedc_reshuffleCIdPdS2_EEviT0_iilT1_iilPi ; -- Begin function _ZN9rocsolver6v33100L16stedc_reshuffleCIdPdS2_EEviT0_iilT1_iilPi
	.p2align	8
	.type	_ZN9rocsolver6v33100L16stedc_reshuffleCIdPdS2_EEviT0_iilT1_iilPi,@function
_ZN9rocsolver6v33100L16stedc_reshuffleCIdPdS2_EEviT0_iilT1_iilPi: ; @_ZN9rocsolver6v33100L16stedc_reshuffleCIdPdS2_EEviT0_iilT1_iilPi
; %bb.0:
	s_load_dword s0, s[4:5], 0x4c
	s_load_dword s37, s[4:5], 0x0
	s_waitcnt lgkmcnt(0)
	s_and_b32 s33, s0, 0xffff
	s_lshl_b32 s36, s33, 4
	v_cvt_f32_u32_e32 v1, s36
	s_sub_i32 s2, 0, s36
	s_add_i32 s0, s37, -1
	s_ashr_i32 s1, s0, 31
	v_rcp_iflag_f32_e32 v1, v1
	s_abs_i32 s0, s0
	v_mul_f32_e32 v1, 0x4f7ffffe, v1
	v_cvt_u32_f32_e32 v1, v1
	v_readfirstlane_b32 s3, v1
	s_mul_i32 s2, s2, s3
	s_mul_hi_u32 s2, s3, s2
	s_add_i32 s3, s3, s2
	s_mul_hi_u32 s2, s0, s3
	s_mul_i32 s3, s2, s36
	s_sub_i32 s0, s0, s3
	s_add_i32 s8, s2, 1
	s_sub_i32 s3, s0, s36
	s_cmp_ge_u32 s0, s36
	s_cselect_b32 s2, s8, s2
	s_cselect_b32 s0, s3, s0
	s_add_i32 s3, s2, 1
	s_cmp_ge_u32 s0, s36
	s_cselect_b32 s0, s3, s2
	s_xor_b32 s0, s0, s1
	s_sub_i32 s16, s0, s1
	s_cmp_lt_i32 s16, 0
	s_cbranch_scc1 .LBB46_67
; %bb.1:
	s_load_dwordx8 s[8:15], s[4:5], 0x8
	s_load_dwordx2 s[18:19], s[4:5], 0x28
	s_load_dwordx4 s[0:3], s[4:5], 0x30
	s_mul_i32 s4, s7, s37
	s_mul_i32 s4, s4, 13
	s_ashr_i32 s5, s4, 31
	s_lshl_b64 s[4:5], s[4:5], 2
	s_waitcnt lgkmcnt(0)
	s_add_u32 s4, s2, s4
	s_mul_i32 s2, s37, 10
	s_addc_u32 s5, s3, s5
	s_ashr_i32 s3, s2, 31
	s_lshl_b64 s[2:3], s[2:3], 2
	s_add_u32 s4, s4, s2
	s_addc_u32 s5, s5, s3
	s_mov_b32 s17, s7
	s_ashr_i32 s7, s6, 31
	s_lshl_b64 s[2:3], s[6:7], 2
	s_add_u32 s2, s4, s2
	s_addc_u32 s3, s5, s3
	s_load_dword s7, s[2:3], 0x0
	s_ashr_i32 s3, s10, 31
	s_mov_b32 s2, s10
	s_ashr_i32 s10, s17, 31
	s_mul_i32 s4, s17, s13
	s_mul_hi_u32 s5, s17, s12
	s_add_i32 s4, s5, s4
	s_mul_i32 s5, s10, s12
	s_add_i32 s5, s4, s5
	s_mul_i32 s4, s17, s12
	s_lshl_b64 s[4:5], s[4:5], 3
	s_add_u32 s4, s8, s4
	s_addc_u32 s5, s9, s5
	s_lshl_b64 s[2:3], s[2:3], 3
	s_add_u32 s4, s4, s2
	s_mul_i32 s1, s17, s1
	s_mul_hi_u32 s8, s17, s0
	s_addc_u32 s5, s5, s3
	s_add_i32 s1, s8, s1
	s_mul_i32 s10, s10, s0
	s_add_i32 s1, s1, s10
	s_mul_i32 s0, s17, s0
	s_ashr_i32 s3, s18, 31
	s_lshl_b64 s[0:1], s[0:1], 3
	s_mov_b32 s2, s18
	s_add_u32 s8, s14, s0
	s_addc_u32 s9, s15, s1
	s_lshl_b64 s[0:1], s[2:3], 3
	s_add_u32 s2, s8, s0
	s_waitcnt lgkmcnt(0)
	s_mul_i32 s0, s7, s11
	s_addc_u32 s3, s9, s1
	s_ashr_i32 s1, s0, 31
	s_lshl_b64 s[0:1], s[0:1], 3
	s_add_u32 s38, s4, s0
	s_mul_i32 s0, s6, s19
	s_addc_u32 s39, s5, s1
	s_ashr_i32 s1, s0, 31
	s_lshl_b64 s[0:1], s[0:1], 3
	s_add_u32 s40, s2, s0
	s_addc_u32 s41, s3, s1
	s_add_i32 s42, s16, 1
	s_lshl_b32 s43, s33, 1
	s_mul_i32 s44, s33, 3
	s_lshl_b32 s45, s33, 2
	s_mul_i32 s46, s33, 5
	s_mul_i32 s47, s33, 6
	;; [unrolled: 1-line block ×3, first 2 shown]
	s_lshl_b32 s49, s33, 3
	s_mul_i32 s50, s33, 9
	s_mul_i32 s51, s33, 10
	s_mul_i32 s52, s33, 11
	s_mul_i32 s53, s33, 12
	s_mul_i32 s54, s33, 13
	s_mul_i32 s55, s33, 14
	s_mul_i32 s56, s33, 15
                                        ; implicit-def: $vgpr2_vgpr3_vgpr4_vgpr5_vgpr6_vgpr7_vgpr8_vgpr9_vgpr10_vgpr11_vgpr12_vgpr13_vgpr14_vgpr15_vgpr16_vgpr17_vgpr18_vgpr19_vgpr20_vgpr21_vgpr22_vgpr23_vgpr24_vgpr25_vgpr26_vgpr27_vgpr28_vgpr29_vgpr30_vgpr31_vgpr32_vgpr33
	s_branch .LBB46_3
.LBB46_2:                               ;   in Loop: Header=BB46_3 Depth=1
	s_or_b64 exec, exec, s[0:1]
	s_add_i32 s42, s42, -1
	s_cmp_eq_u32 s42, 0
	v_add_u32_e32 v0, s36, v0
	s_cbranch_scc1 .LBB46_67
.LBB46_3:                               ; =>This Inner Loop Header: Depth=1
	v_cmp_gt_i32_e32 vcc, s37, v0
	v_ashrrev_i32_e32 v1, 31, v0
	s_and_saveexec_b64 s[2:3], vcc
	s_cbranch_execz .LBB46_5
; %bb.4:                                ;   in Loop: Header=BB46_3 Depth=1
	s_waitcnt vmcnt(0)
	v_lshlrev_b64 v[2:3], 3, v[0:1]
	v_mov_b32_e32 v34, s39
	v_add_co_u32_e64 v2, s[0:1], s38, v2
	v_addc_co_u32_e64 v3, s[0:1], v34, v3, s[0:1]
	global_load_dwordx2 v[2:3], v[2:3], off
.LBB46_5:                               ;   in Loop: Header=BB46_3 Depth=1
	s_or_b64 exec, exec, s[2:3]
	v_add_u32_e32 v34, s33, v0
	v_cmp_gt_i32_e64 s[0:1], s37, v34
	v_ashrrev_i32_e32 v35, 31, v34
	s_and_saveexec_b64 s[4:5], s[0:1]
	s_cbranch_execz .LBB46_7
; %bb.6:                                ;   in Loop: Header=BB46_3 Depth=1
	s_waitcnt vmcnt(0)
	v_lshlrev_b64 v[4:5], 3, v[34:35]
	v_mov_b32_e32 v36, s39
	v_add_co_u32_e64 v4, s[2:3], s38, v4
	v_addc_co_u32_e64 v5, s[2:3], v36, v5, s[2:3]
	global_load_dwordx2 v[4:5], v[4:5], off
.LBB46_7:                               ;   in Loop: Header=BB46_3 Depth=1
	s_or_b64 exec, exec, s[4:5]
	v_add_u32_e32 v36, s43, v0
	v_add_u32_e32 v39, s33, v34
	v_cmp_gt_i32_e64 s[2:3], s37, v39
	v_ashrrev_i32_e32 v37, 31, v36
	s_and_saveexec_b64 s[6:7], s[2:3]
	s_cbranch_execz .LBB46_9
; %bb.8:                                ;   in Loop: Header=BB46_3 Depth=1
	s_waitcnt vmcnt(0)
	v_lshlrev_b64 v[6:7], 3, v[36:37]
	v_mov_b32_e32 v38, s39
	v_add_co_u32_e64 v6, s[4:5], s38, v6
	v_addc_co_u32_e64 v7, s[4:5], v38, v7, s[4:5]
	global_load_dwordx2 v[6:7], v[6:7], off
.LBB46_9:                               ;   in Loop: Header=BB46_3 Depth=1
	s_or_b64 exec, exec, s[6:7]
	v_add_u32_e32 v38, s44, v0
	v_add_u32_e32 v41, s33, v39
	v_cmp_gt_i32_e64 s[4:5], s37, v41
	v_ashrrev_i32_e32 v39, 31, v38
	s_and_saveexec_b64 s[8:9], s[4:5]
	s_cbranch_execz .LBB46_11
; %bb.10:                               ;   in Loop: Header=BB46_3 Depth=1
	s_waitcnt vmcnt(0)
	v_lshlrev_b64 v[8:9], 3, v[38:39]
	v_mov_b32_e32 v40, s39
	v_add_co_u32_e64 v8, s[6:7], s38, v8
	v_addc_co_u32_e64 v9, s[6:7], v40, v9, s[6:7]
	global_load_dwordx2 v[8:9], v[8:9], off
.LBB46_11:                              ;   in Loop: Header=BB46_3 Depth=1
	s_or_b64 exec, exec, s[8:9]
	v_add_u32_e32 v40, s45, v0
	v_add_u32_e32 v43, s33, v41
	v_cmp_gt_i32_e64 s[6:7], s37, v43
	v_ashrrev_i32_e32 v41, 31, v40
	s_and_saveexec_b64 s[10:11], s[6:7]
	s_cbranch_execz .LBB46_13
; %bb.12:                               ;   in Loop: Header=BB46_3 Depth=1
	s_waitcnt vmcnt(0)
	v_lshlrev_b64 v[10:11], 3, v[40:41]
	v_mov_b32_e32 v42, s39
	v_add_co_u32_e64 v10, s[8:9], s38, v10
	v_addc_co_u32_e64 v11, s[8:9], v42, v11, s[8:9]
	global_load_dwordx2 v[10:11], v[10:11], off
.LBB46_13:                              ;   in Loop: Header=BB46_3 Depth=1
	;; [unrolled: 15-line block ×12, first 2 shown]
	s_or_b64 exec, exec, s[30:31]
	v_add_u32_e32 v62, s56, v0
	v_add_u32_e32 v63, s33, v63
	v_cmp_gt_i32_e64 s[28:29], s37, v63
	v_ashrrev_i32_e32 v63, 31, v62
	s_and_saveexec_b64 s[34:35], s[28:29]
	s_cbranch_execnz .LBB46_50
; %bb.34:                               ;   in Loop: Header=BB46_3 Depth=1
	s_or_b64 exec, exec, s[34:35]
	s_and_saveexec_b64 s[30:31], vcc
	s_cbranch_execnz .LBB46_51
.LBB46_35:                              ;   in Loop: Header=BB46_3 Depth=1
	s_or_b64 exec, exec, s[30:31]
	s_and_saveexec_b64 s[30:31], s[0:1]
	s_cbranch_execnz .LBB46_52
.LBB46_36:                              ;   in Loop: Header=BB46_3 Depth=1
	s_or_b64 exec, exec, s[30:31]
	s_and_saveexec_b64 s[0:1], s[2:3]
	s_cbranch_execnz .LBB46_53
.LBB46_37:                              ;   in Loop: Header=BB46_3 Depth=1
	s_or_b64 exec, exec, s[0:1]
	s_and_saveexec_b64 s[0:1], s[4:5]
	s_cbranch_execnz .LBB46_54
.LBB46_38:                              ;   in Loop: Header=BB46_3 Depth=1
	s_or_b64 exec, exec, s[0:1]
	s_and_saveexec_b64 s[0:1], s[6:7]
	s_cbranch_execnz .LBB46_55
.LBB46_39:                              ;   in Loop: Header=BB46_3 Depth=1
	s_or_b64 exec, exec, s[0:1]
	s_and_saveexec_b64 s[0:1], s[8:9]
	s_cbranch_execnz .LBB46_56
.LBB46_40:                              ;   in Loop: Header=BB46_3 Depth=1
	s_or_b64 exec, exec, s[0:1]
	s_and_saveexec_b64 s[0:1], s[10:11]
	s_cbranch_execnz .LBB46_57
.LBB46_41:                              ;   in Loop: Header=BB46_3 Depth=1
	s_or_b64 exec, exec, s[0:1]
	s_and_saveexec_b64 s[0:1], s[12:13]
	s_cbranch_execnz .LBB46_58
.LBB46_42:                              ;   in Loop: Header=BB46_3 Depth=1
	s_or_b64 exec, exec, s[0:1]
	s_and_saveexec_b64 s[0:1], s[14:15]
	s_cbranch_execnz .LBB46_59
.LBB46_43:                              ;   in Loop: Header=BB46_3 Depth=1
	s_or_b64 exec, exec, s[0:1]
	s_and_saveexec_b64 s[0:1], s[16:17]
	s_cbranch_execnz .LBB46_60
.LBB46_44:                              ;   in Loop: Header=BB46_3 Depth=1
	s_or_b64 exec, exec, s[0:1]
	s_and_saveexec_b64 s[0:1], s[18:19]
	s_cbranch_execnz .LBB46_61
.LBB46_45:                              ;   in Loop: Header=BB46_3 Depth=1
	s_or_b64 exec, exec, s[0:1]
	s_and_saveexec_b64 s[0:1], s[20:21]
	s_cbranch_execnz .LBB46_62
.LBB46_46:                              ;   in Loop: Header=BB46_3 Depth=1
	s_or_b64 exec, exec, s[0:1]
	s_and_saveexec_b64 s[0:1], s[22:23]
	s_cbranch_execnz .LBB46_63
.LBB46_47:                              ;   in Loop: Header=BB46_3 Depth=1
	s_or_b64 exec, exec, s[0:1]
	s_and_saveexec_b64 s[0:1], s[24:25]
	s_cbranch_execnz .LBB46_64
.LBB46_48:                              ;   in Loop: Header=BB46_3 Depth=1
	s_or_b64 exec, exec, s[0:1]
	s_and_saveexec_b64 s[0:1], s[26:27]
	s_cbranch_execnz .LBB46_65
.LBB46_49:                              ;   in Loop: Header=BB46_3 Depth=1
	s_or_b64 exec, exec, s[0:1]
	s_and_saveexec_b64 s[0:1], s[28:29]
	s_cbranch_execz .LBB46_2
	s_branch .LBB46_66
.LBB46_50:                              ;   in Loop: Header=BB46_3 Depth=1
	s_waitcnt vmcnt(0)
	v_lshlrev_b64 v[32:33], 3, v[62:63]
	v_mov_b32_e32 v64, s39
	v_add_co_u32_e64 v32, s[30:31], s38, v32
	v_addc_co_u32_e64 v33, s[30:31], v64, v33, s[30:31]
	global_load_dwordx2 v[32:33], v[32:33], off
	s_or_b64 exec, exec, s[34:35]
	s_and_saveexec_b64 s[30:31], vcc
	s_cbranch_execz .LBB46_35
.LBB46_51:                              ;   in Loop: Header=BB46_3 Depth=1
	v_lshlrev_b64 v[64:65], 3, v[0:1]
	v_mov_b32_e32 v1, s41
	v_add_co_u32_e32 v64, vcc, s40, v64
	v_addc_co_u32_e32 v65, vcc, v1, v65, vcc
	s_waitcnt vmcnt(0)
	global_store_dwordx2 v[64:65], v[2:3], off
	s_or_b64 exec, exec, s[30:31]
	s_and_saveexec_b64 s[30:31], s[0:1]
	s_cbranch_execz .LBB46_36
.LBB46_52:                              ;   in Loop: Header=BB46_3 Depth=1
	v_lshlrev_b64 v[34:35], 3, v[34:35]
	v_mov_b32_e32 v1, s41
	v_add_co_u32_e32 v34, vcc, s40, v34
	v_addc_co_u32_e32 v35, vcc, v1, v35, vcc
	s_waitcnt vmcnt(0)
	global_store_dwordx2 v[34:35], v[4:5], off
	s_or_b64 exec, exec, s[30:31]
	s_and_saveexec_b64 s[0:1], s[2:3]
	s_cbranch_execz .LBB46_37
.LBB46_53:                              ;   in Loop: Header=BB46_3 Depth=1
	v_lshlrev_b64 v[34:35], 3, v[36:37]
	v_mov_b32_e32 v1, s41
	v_add_co_u32_e32 v34, vcc, s40, v34
	v_addc_co_u32_e32 v35, vcc, v1, v35, vcc
	s_waitcnt vmcnt(0)
	global_store_dwordx2 v[34:35], v[6:7], off
	s_or_b64 exec, exec, s[0:1]
	s_and_saveexec_b64 s[0:1], s[4:5]
	s_cbranch_execz .LBB46_38
.LBB46_54:                              ;   in Loop: Header=BB46_3 Depth=1
	v_lshlrev_b64 v[34:35], 3, v[38:39]
	v_mov_b32_e32 v1, s41
	v_add_co_u32_e32 v34, vcc, s40, v34
	v_addc_co_u32_e32 v35, vcc, v1, v35, vcc
	s_waitcnt vmcnt(0)
	global_store_dwordx2 v[34:35], v[8:9], off
	s_or_b64 exec, exec, s[0:1]
	s_and_saveexec_b64 s[0:1], s[6:7]
	s_cbranch_execz .LBB46_39
.LBB46_55:                              ;   in Loop: Header=BB46_3 Depth=1
	v_lshlrev_b64 v[34:35], 3, v[40:41]
	v_mov_b32_e32 v1, s41
	v_add_co_u32_e32 v34, vcc, s40, v34
	v_addc_co_u32_e32 v35, vcc, v1, v35, vcc
	s_waitcnt vmcnt(0)
	global_store_dwordx2 v[34:35], v[10:11], off
	s_or_b64 exec, exec, s[0:1]
	s_and_saveexec_b64 s[0:1], s[8:9]
	s_cbranch_execz .LBB46_40
.LBB46_56:                              ;   in Loop: Header=BB46_3 Depth=1
	v_lshlrev_b64 v[34:35], 3, v[42:43]
	v_mov_b32_e32 v1, s41
	v_add_co_u32_e32 v34, vcc, s40, v34
	v_addc_co_u32_e32 v35, vcc, v1, v35, vcc
	s_waitcnt vmcnt(0)
	global_store_dwordx2 v[34:35], v[12:13], off
	s_or_b64 exec, exec, s[0:1]
	s_and_saveexec_b64 s[0:1], s[10:11]
	s_cbranch_execz .LBB46_41
.LBB46_57:                              ;   in Loop: Header=BB46_3 Depth=1
	v_lshlrev_b64 v[34:35], 3, v[44:45]
	v_mov_b32_e32 v1, s41
	v_add_co_u32_e32 v34, vcc, s40, v34
	v_addc_co_u32_e32 v35, vcc, v1, v35, vcc
	s_waitcnt vmcnt(0)
	global_store_dwordx2 v[34:35], v[14:15], off
	s_or_b64 exec, exec, s[0:1]
	s_and_saveexec_b64 s[0:1], s[12:13]
	s_cbranch_execz .LBB46_42
.LBB46_58:                              ;   in Loop: Header=BB46_3 Depth=1
	v_lshlrev_b64 v[34:35], 3, v[46:47]
	v_mov_b32_e32 v1, s41
	v_add_co_u32_e32 v34, vcc, s40, v34
	v_addc_co_u32_e32 v35, vcc, v1, v35, vcc
	s_waitcnt vmcnt(0)
	global_store_dwordx2 v[34:35], v[16:17], off
	s_or_b64 exec, exec, s[0:1]
	s_and_saveexec_b64 s[0:1], s[14:15]
	s_cbranch_execz .LBB46_43
.LBB46_59:                              ;   in Loop: Header=BB46_3 Depth=1
	v_lshlrev_b64 v[34:35], 3, v[48:49]
	v_mov_b32_e32 v1, s41
	v_add_co_u32_e32 v34, vcc, s40, v34
	v_addc_co_u32_e32 v35, vcc, v1, v35, vcc
	s_waitcnt vmcnt(0)
	global_store_dwordx2 v[34:35], v[18:19], off
	s_or_b64 exec, exec, s[0:1]
	s_and_saveexec_b64 s[0:1], s[16:17]
	s_cbranch_execz .LBB46_44
.LBB46_60:                              ;   in Loop: Header=BB46_3 Depth=1
	v_lshlrev_b64 v[34:35], 3, v[50:51]
	v_mov_b32_e32 v1, s41
	v_add_co_u32_e32 v34, vcc, s40, v34
	v_addc_co_u32_e32 v35, vcc, v1, v35, vcc
	s_waitcnt vmcnt(0)
	global_store_dwordx2 v[34:35], v[20:21], off
	s_or_b64 exec, exec, s[0:1]
	s_and_saveexec_b64 s[0:1], s[18:19]
	s_cbranch_execz .LBB46_45
.LBB46_61:                              ;   in Loop: Header=BB46_3 Depth=1
	v_lshlrev_b64 v[34:35], 3, v[52:53]
	v_mov_b32_e32 v1, s41
	v_add_co_u32_e32 v34, vcc, s40, v34
	v_addc_co_u32_e32 v35, vcc, v1, v35, vcc
	s_waitcnt vmcnt(0)
	global_store_dwordx2 v[34:35], v[22:23], off
	s_or_b64 exec, exec, s[0:1]
	s_and_saveexec_b64 s[0:1], s[20:21]
	s_cbranch_execz .LBB46_46
.LBB46_62:                              ;   in Loop: Header=BB46_3 Depth=1
	v_lshlrev_b64 v[34:35], 3, v[54:55]
	v_mov_b32_e32 v1, s41
	v_add_co_u32_e32 v34, vcc, s40, v34
	v_addc_co_u32_e32 v35, vcc, v1, v35, vcc
	s_waitcnt vmcnt(0)
	global_store_dwordx2 v[34:35], v[24:25], off
	s_or_b64 exec, exec, s[0:1]
	s_and_saveexec_b64 s[0:1], s[22:23]
	s_cbranch_execz .LBB46_47
.LBB46_63:                              ;   in Loop: Header=BB46_3 Depth=1
	v_lshlrev_b64 v[34:35], 3, v[56:57]
	v_mov_b32_e32 v1, s41
	v_add_co_u32_e32 v34, vcc, s40, v34
	v_addc_co_u32_e32 v35, vcc, v1, v35, vcc
	s_waitcnt vmcnt(0)
	global_store_dwordx2 v[34:35], v[26:27], off
	s_or_b64 exec, exec, s[0:1]
	s_and_saveexec_b64 s[0:1], s[24:25]
	s_cbranch_execz .LBB46_48
.LBB46_64:                              ;   in Loop: Header=BB46_3 Depth=1
	v_lshlrev_b64 v[34:35], 3, v[58:59]
	v_mov_b32_e32 v1, s41
	v_add_co_u32_e32 v34, vcc, s40, v34
	v_addc_co_u32_e32 v35, vcc, v1, v35, vcc
	s_waitcnt vmcnt(0)
	global_store_dwordx2 v[34:35], v[28:29], off
	s_or_b64 exec, exec, s[0:1]
	s_and_saveexec_b64 s[0:1], s[26:27]
	s_cbranch_execz .LBB46_49
.LBB46_65:                              ;   in Loop: Header=BB46_3 Depth=1
	v_lshlrev_b64 v[34:35], 3, v[60:61]
	v_mov_b32_e32 v1, s41
	v_add_co_u32_e32 v34, vcc, s40, v34
	v_addc_co_u32_e32 v35, vcc, v1, v35, vcc
	s_waitcnt vmcnt(0)
	global_store_dwordx2 v[34:35], v[30:31], off
	s_or_b64 exec, exec, s[0:1]
	s_and_saveexec_b64 s[0:1], s[28:29]
	s_cbranch_execz .LBB46_2
.LBB46_66:                              ;   in Loop: Header=BB46_3 Depth=1
	v_lshlrev_b64 v[34:35], 3, v[62:63]
	v_mov_b32_e32 v1, s41
	v_add_co_u32_e32 v34, vcc, s40, v34
	v_addc_co_u32_e32 v35, vcc, v1, v35, vcc
	s_waitcnt vmcnt(0)
	global_store_dwordx2 v[34:35], v[32:33], off
	s_branch .LBB46_2
.LBB46_67:
	s_endpgm
	.section	.rodata,"a",@progbits
	.p2align	6, 0x0
	.amdhsa_kernel _ZN9rocsolver6v33100L16stedc_reshuffleCIdPdS2_EEviT0_iilT1_iilPi
		.amdhsa_group_segment_fixed_size 0
		.amdhsa_private_segment_fixed_size 0
		.amdhsa_kernarg_size 320
		.amdhsa_user_sgpr_count 6
		.amdhsa_user_sgpr_private_segment_buffer 1
		.amdhsa_user_sgpr_dispatch_ptr 0
		.amdhsa_user_sgpr_queue_ptr 0
		.amdhsa_user_sgpr_kernarg_segment_ptr 1
		.amdhsa_user_sgpr_dispatch_id 0
		.amdhsa_user_sgpr_flat_scratch_init 0
		.amdhsa_user_sgpr_kernarg_preload_length 0
		.amdhsa_user_sgpr_kernarg_preload_offset 0
		.amdhsa_user_sgpr_private_segment_size 0
		.amdhsa_uses_dynamic_stack 0
		.amdhsa_system_sgpr_private_segment_wavefront_offset 0
		.amdhsa_system_sgpr_workgroup_id_x 1
		.amdhsa_system_sgpr_workgroup_id_y 1
		.amdhsa_system_sgpr_workgroup_id_z 0
		.amdhsa_system_sgpr_workgroup_info 0
		.amdhsa_system_vgpr_workitem_id 0
		.amdhsa_next_free_vgpr 66
		.amdhsa_next_free_sgpr 57
		.amdhsa_accum_offset 68
		.amdhsa_reserve_vcc 1
		.amdhsa_reserve_flat_scratch 0
		.amdhsa_float_round_mode_32 0
		.amdhsa_float_round_mode_16_64 0
		.amdhsa_float_denorm_mode_32 3
		.amdhsa_float_denorm_mode_16_64 3
		.amdhsa_dx10_clamp 1
		.amdhsa_ieee_mode 1
		.amdhsa_fp16_overflow 0
		.amdhsa_tg_split 0
		.amdhsa_exception_fp_ieee_invalid_op 0
		.amdhsa_exception_fp_denorm_src 0
		.amdhsa_exception_fp_ieee_div_zero 0
		.amdhsa_exception_fp_ieee_overflow 0
		.amdhsa_exception_fp_ieee_underflow 0
		.amdhsa_exception_fp_ieee_inexact 0
		.amdhsa_exception_int_div_zero 0
	.end_amdhsa_kernel
	.section	.text._ZN9rocsolver6v33100L16stedc_reshuffleCIdPdS2_EEviT0_iilT1_iilPi,"axG",@progbits,_ZN9rocsolver6v33100L16stedc_reshuffleCIdPdS2_EEviT0_iilT1_iilPi,comdat
.Lfunc_end46:
	.size	_ZN9rocsolver6v33100L16stedc_reshuffleCIdPdS2_EEviT0_iilT1_iilPi, .Lfunc_end46-_ZN9rocsolver6v33100L16stedc_reshuffleCIdPdS2_EEviT0_iilT1_iilPi
                                        ; -- End function
	.section	.AMDGPU.csdata,"",@progbits
; Kernel info:
; codeLenInByte = 2528
; NumSgprs: 61
; NumVgprs: 66
; NumAgprs: 0
; TotalNumVgprs: 66
; ScratchSize: 0
; MemoryBound: 0
; FloatMode: 240
; IeeeMode: 1
; LDSByteSize: 0 bytes/workgroup (compile time only)
; SGPRBlocks: 7
; VGPRBlocks: 8
; NumSGPRsForWavesPerEU: 61
; NumVGPRsForWavesPerEU: 66
; AccumOffset: 68
; Occupancy: 7
; WaveLimiterHint : 1
; COMPUTE_PGM_RSRC2:SCRATCH_EN: 0
; COMPUTE_PGM_RSRC2:USER_SGPR: 6
; COMPUTE_PGM_RSRC2:TRAP_HANDLER: 0
; COMPUTE_PGM_RSRC2:TGID_X_EN: 1
; COMPUTE_PGM_RSRC2:TGID_Y_EN: 1
; COMPUTE_PGM_RSRC2:TGID_Z_EN: 0
; COMPUTE_PGM_RSRC2:TIDIG_COMP_CNT: 0
; COMPUTE_PGM_RSRC3_GFX90A:ACCUM_OFFSET: 16
; COMPUTE_PGM_RSRC3_GFX90A:TG_SPLIT: 0
	.section	.text._ZN9rocsolver6v33100L30stedc_mergeValues_Solve_kernelIdEEviiPT_lS3_lS3_S3_PiS2_S2_S2_,"axG",@progbits,_ZN9rocsolver6v33100L30stedc_mergeValues_Solve_kernelIdEEviiPT_lS3_lS3_S3_PiS2_S2_S2_,comdat
	.globl	_ZN9rocsolver6v33100L30stedc_mergeValues_Solve_kernelIdEEviiPT_lS3_lS3_S3_PiS2_S2_S2_ ; -- Begin function _ZN9rocsolver6v33100L30stedc_mergeValues_Solve_kernelIdEEviiPT_lS3_lS3_S3_PiS2_S2_S2_
	.p2align	8
	.type	_ZN9rocsolver6v33100L30stedc_mergeValues_Solve_kernelIdEEviiPT_lS3_lS3_S3_PiS2_S2_S2_,@function
_ZN9rocsolver6v33100L30stedc_mergeValues_Solve_kernelIdEEviiPT_lS3_lS3_S3_PiS2_S2_S2_: ; @_ZN9rocsolver6v33100L30stedc_mergeValues_Solve_kernelIdEEviiPT_lS3_lS3_S3_PiS2_S2_S2_
; %bb.0:
	s_load_dword s1, s[4:5], 0x64
	s_load_dword s0, s[4:5], 0x4
	s_waitcnt lgkmcnt(0)
	s_and_b32 s1, s1, 0xffff
	s_mul_i32 s6, s6, s1
	v_add_u32_e32 v2, s6, v0
	v_cmp_gt_i32_e32 vcc, s0, v2
	s_and_saveexec_b64 s[2:3], vcc
	s_cbranch_execz .LBB47_190
; %bb.1:
	s_load_dwordx8 s[12:19], s[4:5], 0x28
	s_mul_i32 s2, s7, s0
	s_mul_i32 s4, s2, 13
	s_ashr_i32 s5, s4, 31
	s_ashr_i32 s1, s0, 31
	s_lshl_b64 s[4:5], s[4:5], 2
	s_waitcnt lgkmcnt(0)
	s_add_u32 s3, s16, s4
	s_mul_i32 s4, s0, 6
	s_addc_u32 s6, s17, s5
	s_ashr_i32 s5, s4, 31
	s_lshl_b64 s[4:5], s[4:5], 2
	s_add_u32 s3, s3, s4
	v_ashrrev_i32_e32 v3, 31, v2
	s_addc_u32 s6, s6, s5
	s_lshl_b64 s[4:5], s[0:1], 2
	v_lshlrev_b64 v[0:1], 2, v[2:3]
	s_add_u32 s4, s3, s4
	v_mov_b32_e32 v5, s6
	v_add_co_u32_e32 v4, vcc, s3, v0
	s_addc_u32 s5, s6, s5
	v_addc_co_u32_e32 v5, vcc, v5, v1, vcc
	v_mov_b32_e32 v6, s5
	v_add_co_u32_e32 v0, vcc, s4, v0
	v_addc_co_u32_e32 v1, vcc, v6, v1, vcc
	global_load_dword v12, v[4:5], off
	global_load_dword v24, v[0:1], off
	s_waitcnt vmcnt(1)
	v_sub_u32_e32 v0, v2, v12
	s_waitcnt vmcnt(0)
	v_cmp_lt_i32_e32 vcc, v0, v24
	s_and_b64 exec, exec, vcc
	s_cbranch_execz .LBB47_190
; %bb.2:
	s_mul_i32 s4, s2, 10
	s_ashr_i32 s5, s4, 31
	s_lshl_b64 s[22:23], s[4:5], 3
	s_add_u32 s3, s12, s22
	s_addc_u32 s6, s13, s23
	s_lshl_b32 s4, s0, 3
	s_ashr_i32 s5, s4, 31
	s_lshl_b64 s[24:25], s[4:5], 3
	s_add_u32 s7, s3, s24
	s_addc_u32 s6, s6, s25
	s_mul_i32 s4, s0, 0xffffffc8
	s_mul_hi_i32 s3, s0, 0xffffffc8
	s_add_u32 s33, s7, s4
	s_addc_u32 s40, s6, s3
	s_lshl_b64 s[4:5], s[0:1], 6
	s_add_u32 s1, s33, s4
	s_mul_i32 s2, s2, s0
	s_addc_u32 s3, s40, s5
	s_lshl_b32 s2, s2, 1
	v_mov_b32_e32 v1, s3
	s_ashr_i32 s3, s2, 31
	v_lshlrev_b64 v[4:5], 3, v[2:3]
	s_lshl_b64 s[28:29], s[2:3], 3
	v_add_co_u32_e32 v6, vcc, s1, v4
	s_add_u32 s1, s14, s28
	s_mul_i32 s2, s0, s0
	s_mov_b32 s3, 0
	s_addc_u32 s4, s15, s29
	s_lshl_b64 s[26:27], s[2:3], 3
	v_mul_lo_u32 v2, v2, s0
	s_add_u32 s1, s1, s26
	v_ashrrev_i32_e32 v3, 31, v2
	v_addc_co_u32_e32 v7, vcc, v1, v5, vcc
	s_addc_u32 s2, s4, s27
	v_lshlrev_b64 v[36:37], 3, v[2:3]
	v_mov_b32_e32 v1, s2
	v_add_co_u32_e32 v8, vcc, s1, v36
	v_addc_co_u32_e32 v9, vcc, v1, v37, vcc
	v_ashrrev_i32_e32 v1, 31, v0
	v_lshlrev_b64 v[20:21], 3, v[0:1]
	v_add_co_u32_e32 v10, vcc, v8, v20
	v_addc_co_u32_e32 v11, vcc, v9, v21, vcc
	global_load_dwordx2 v[6:7], v[6:7], off
	v_ashrrev_i32_e32 v13, 31, v12
	global_load_dwordx2 v[16:17], v[10:11], off
	v_lshlrev_b64 v[34:35], 3, v[12:13]
	v_add_u32_e32 v14, -1, v24
	v_mov_b32_e32 v1, s6
	v_add_co_u32_e64 v12, s[0:1], s7, v34
	v_cmp_ne_u32_e32 vcc, v0, v14
	v_addc_co_u32_e64 v13, s[0:1], v1, v35, s[0:1]
                                        ; implicit-def: $vgpr2_vgpr3
	s_and_saveexec_b64 s[0:1], vcc
	s_xor_b64 s[16:17], exec, s[0:1]
	s_cbranch_execz .LBB47_118
; %bb.3:
	global_load_dwordx2 v[38:39], v[10:11], off offset:8
	v_cmp_lt_i32_e32 vcc, 0, v0
	s_waitcnt vmcnt(0)
	v_add_f64 v[2:3], v[16:17], v[38:39]
	v_mul_f64 v[22:23], v[2:3], 0.5
	v_pk_mov_b32 v[2:3], 0, 0
	s_and_saveexec_b64 s[0:1], vcc
	s_cbranch_execz .LBB47_7
; %bb.4:
	s_mov_b64 s[2:3], 0
	v_pk_mov_b32 v[2:3], 0, 0
	v_pk_mov_b32 v[18:19], v[12:13], v[12:13] op_sel:[0,1]
	v_pk_mov_b32 v[24:25], v[8:9], v[8:9] op_sel:[0,1]
	v_mov_b32_e32 v1, v0
.LBB47_5:                               ; =>This Inner Loop Header: Depth=1
	global_load_dwordx2 v[26:27], v[24:25], off
	global_load_dwordx2 v[28:29], v[18:19], off
	v_add_co_u32_e32 v24, vcc, 8, v24
	v_addc_co_u32_e32 v25, vcc, 0, v25, vcc
	v_add_co_u32_e32 v18, vcc, 8, v18
	v_add_u32_e32 v1, -1, v1
	v_addc_co_u32_e32 v19, vcc, 0, v19, vcc
	v_cmp_eq_u32_e32 vcc, 0, v1
	s_or_b64 s[2:3], vcc, s[2:3]
	s_waitcnt vmcnt(1)
	v_add_f64 v[26:27], v[26:27], -v[22:23]
	s_waitcnt vmcnt(0)
	v_div_scale_f64 v[30:31], s[4:5], v[26:27], v[26:27], v[28:29]
	v_rcp_f64_e32 v[32:33], v[30:31]
	v_div_scale_f64 v[40:41], vcc, v[28:29], v[26:27], v[28:29]
	v_fma_f64 v[42:43], -v[30:31], v[32:33], 1.0
	v_fmac_f64_e32 v[32:33], v[32:33], v[42:43]
	v_fma_f64 v[42:43], -v[30:31], v[32:33], 1.0
	v_fmac_f64_e32 v[32:33], v[32:33], v[42:43]
	v_mul_f64 v[42:43], v[40:41], v[32:33]
	v_fma_f64 v[30:31], -v[30:31], v[42:43], v[40:41]
	v_div_fmas_f64 v[30:31], v[30:31], v[32:33], v[42:43]
	v_div_fixup_f64 v[26:27], v[30:31], v[26:27], v[28:29]
	v_fmac_f64_e32 v[2:3], v[28:29], v[26:27]
	s_andn2_b64 exec, exec, s[2:3]
	s_cbranch_execnz .LBB47_5
; %bb.6:
	s_or_b64 exec, exec, s[2:3]
.LBB47_7:
	s_or_b64 exec, exec, s[0:1]
	v_add_u32_e32 v18, 1, v0
	v_cmp_gt_i32_e32 vcc, v14, v18
	v_pk_mov_b32 v[26:27], 0, 0
	v_ashrrev_i32_e32 v15, 31, v14
	s_and_saveexec_b64 s[0:1], vcc
	s_cbranch_execz .LBB47_11
; %bb.8:
	v_mov_b32_e32 v1, s29
	v_add_co_u32_e32 v19, vcc, s28, v36
	v_addc_co_u32_e32 v1, vcc, v1, v37, vcc
	v_lshlrev_b64 v[26:27], 3, v[14:15]
	v_add_co_u32_e32 v19, vcc, v19, v26
	s_add_u32 s2, s14, s26
	v_addc_co_u32_e32 v1, vcc, v1, v27, vcc
	s_addc_u32 s3, s15, s27
	v_mov_b32_e32 v25, s3
	v_add_co_u32_e32 v24, vcc, s2, v19
	s_add_u32 s2, s24, s22
	v_addc_co_u32_e32 v25, vcc, v25, v1, vcc
	s_addc_u32 s3, s25, s23
	v_mov_b32_e32 v1, s3
	v_add_co_u32_e32 v19, vcc, s2, v34
	v_addc_co_u32_e32 v1, vcc, v1, v35, vcc
	v_add_co_u32_e32 v19, vcc, v19, v26
	v_addc_co_u32_e32 v1, vcc, v1, v27, vcc
	v_mov_b32_e32 v26, s13
	v_add_co_u32_e32 v28, vcc, s12, v19
	v_addc_co_u32_e32 v29, vcc, v26, v1, vcc
	s_mov_b64 s[2:3], 0
	v_pk_mov_b32 v[26:27], 0, 0
	v_mov_b32_e32 v1, v14
.LBB47_9:                               ; =>This Inner Loop Header: Depth=1
	global_load_dwordx2 v[30:31], v[24:25], off
	global_load_dwordx2 v[32:33], v[28:29], off
	v_add_co_u32_e32 v24, vcc, -8, v24
	v_addc_co_u32_e32 v25, vcc, -1, v25, vcc
	v_add_co_u32_e32 v28, vcc, -8, v28
	v_add_u32_e32 v1, -1, v1
	v_addc_co_u32_e32 v29, vcc, -1, v29, vcc
	v_cmp_le_i32_e32 vcc, v1, v18
	s_or_b64 s[2:3], vcc, s[2:3]
	s_waitcnt vmcnt(1)
	v_add_f64 v[30:31], v[30:31], -v[22:23]
	s_waitcnt vmcnt(0)
	v_div_scale_f64 v[40:41], s[4:5], v[30:31], v[30:31], v[32:33]
	v_rcp_f64_e32 v[42:43], v[40:41]
	v_div_scale_f64 v[44:45], vcc, v[32:33], v[30:31], v[32:33]
	v_fma_f64 v[46:47], -v[40:41], v[42:43], 1.0
	v_fmac_f64_e32 v[42:43], v[42:43], v[46:47]
	v_fma_f64 v[46:47], -v[40:41], v[42:43], 1.0
	v_fmac_f64_e32 v[42:43], v[42:43], v[46:47]
	v_mul_f64 v[46:47], v[44:45], v[42:43]
	v_fma_f64 v[40:41], -v[40:41], v[46:47], v[44:45]
	v_div_fmas_f64 v[40:41], v[40:41], v[42:43], v[46:47]
	v_div_fixup_f64 v[30:31], v[40:41], v[30:31], v[32:33]
	v_fmac_f64_e32 v[26:27], v[32:33], v[30:31]
	s_andn2_b64 exec, exec, s[2:3]
	s_cbranch_execnz .LBB47_9
; %bb.10:
	s_or_b64 exec, exec, s[2:3]
.LBB47_11:
	s_or_b64 exec, exec, s[0:1]
	v_add_co_u32_e32 v20, vcc, v12, v20
	v_addc_co_u32_e32 v21, vcc, v13, v21, vcc
	global_load_dwordx4 v[30:33], v[20:21], off
	v_and_b32_e32 v25, 0x7fffffff, v7
	v_mov_b32_e32 v24, v6
	v_div_scale_f64 v[28:29], s[0:1], v[24:25], v[24:25], 1.0
	v_rcp_f64_e32 v[40:41], v[28:29]
	v_div_scale_f64 v[24:25], vcc, 1.0, v[24:25], 1.0
	v_add_f64 v[22:23], v[38:39], -v[16:17]
	v_fma_f64 v[42:43], -v[28:29], v[40:41], 1.0
	v_fmac_f64_e32 v[40:41], v[40:41], v[42:43]
	v_fma_f64 v[42:43], -v[28:29], v[40:41], 1.0
	v_fmac_f64_e32 v[40:41], v[40:41], v[42:43]
	v_mul_f64 v[42:43], v[24:25], v[40:41]
	v_fma_f64 v[24:25], -v[28:29], v[42:43], v[24:25]
	v_div_fmas_f64 v[24:25], v[24:25], v[40:41], v[42:43]
	v_div_fixup_f64 v[24:25], v[24:25], |v[6:7]|, 1.0
	v_add_f64 v[2:3], v[24:25], v[2:3]
	v_add_f64 v[28:29], v[2:3], v[26:27]
	v_mul_f64 v[46:47], v[22:23], v[28:29]
                                        ; implicit-def: $sgpr6_sgpr7
	s_waitcnt vmcnt(0)
	v_mul_f64 v[30:31], v[30:31], v[30:31]
	v_fma_f64 v[2:3], v[32:33], v[32:33], -v[30:31]
	v_add_f64 v[2:3], v[2:3], v[2:3]
	v_div_scale_f64 v[26:27], s[0:1], v[22:23], v[22:23], v[2:3]
	v_rcp_f64_e32 v[40:41], v[26:27]
	v_div_scale_f64 v[42:43], vcc, v[2:3], v[22:23], v[2:3]
	v_mul_f64 v[32:33], v[32:33], v[32:33]
	v_fma_f64 v[44:45], -v[26:27], v[40:41], 1.0
	v_fmac_f64_e32 v[40:41], v[40:41], v[44:45]
	v_fma_f64 v[44:45], -v[26:27], v[40:41], 1.0
	v_fmac_f64_e32 v[40:41], v[40:41], v[44:45]
	v_mul_f64 v[44:45], v[42:43], v[40:41]
	v_fma_f64 v[26:27], -v[26:27], v[44:45], v[42:43]
	v_div_fmas_f64 v[26:27], v[26:27], v[40:41], v[44:45]
	v_div_fixup_f64 v[2:3], v[26:27], v[22:23], v[2:3]
	v_add_f64 v[2:3], v[28:29], v[2:3]
	v_cmp_lt_f64_e64 s[0:1], 0, v[2:3]
	v_cmp_nlt_f64_e64 s[2:3], 0, v[2:3]
                                        ; implicit-def: $vgpr2_vgpr3
                                        ; implicit-def: $vgpr42_vgpr43
                                        ; implicit-def: $vgpr40_vgpr41
	s_and_saveexec_b64 s[4:5], s[2:3]
	s_xor_b64 s[4:5], exec, s[4:5]
	s_cbranch_execz .LBB47_17
; %bb.12:
	v_mul_f64 v[2:3], v[22:23], v[32:33]
	v_add_f64 v[0:1], v[46:47], -v[30:31]
	v_mul_f64 v[26:27], v[2:3], 4.0
	v_add_f64 v[0:1], v[0:1], -v[32:33]
	v_mul_f64 v[26:27], v[28:29], v[26:27]
	s_mov_b32 s6, 0
	v_fmac_f64_e32 v[26:27], v[0:1], v[0:1]
	s_brev_b32 s7, 8
	v_cmp_lt_f64_e64 vcc, |v[26:27]|, s[6:7]
	v_cndmask_b32_e64 v19, 0, 1, vcc
	v_lshlrev_b32_e32 v19, 8, v19
	v_ldexp_f64 v[26:27], |v[26:27]|, v19
	v_rsq_f64_e32 v[30:31], v[26:27]
	v_mov_b32_e32 v19, 0xffffff80
	v_cndmask_b32_e32 v19, 0, v19, vcc
	v_mul_f64 v[32:33], v[26:27], v[30:31]
	v_mul_f64 v[30:31], v[30:31], 0.5
	v_fma_f64 v[40:41], -v[30:31], v[32:33], 0.5
	v_fmac_f64_e32 v[32:33], v[32:33], v[40:41]
	v_fma_f64 v[42:43], -v[32:33], v[32:33], v[26:27]
	v_fmac_f64_e32 v[30:31], v[30:31], v[40:41]
	v_fmac_f64_e32 v[32:33], v[42:43], v[30:31]
	v_fma_f64 v[40:41], -v[32:33], v[32:33], v[26:27]
	v_fmac_f64_e32 v[32:33], v[40:41], v[30:31]
	v_ldexp_f64 v[30:31], v[32:33], v19
	v_mov_b32_e32 v19, 0x260
	v_cmp_class_f64_e32 vcc, v[26:27], v19
	v_cndmask_b32_e32 v27, v31, v27, vcc
	v_cndmask_b32_e32 v26, v30, v26, vcc
	v_cmp_ngt_f64_e32 vcc, 0, v[0:1]
                                        ; implicit-def: $vgpr42_vgpr43
	s_and_saveexec_b64 s[6:7], vcc
	s_xor_b64 s[6:7], exec, s[6:7]
	s_cbranch_execz .LBB47_14
; %bb.13:
	v_add_f64 v[0:1], v[0:1], v[26:27]
	v_add_f64 v[2:3], v[28:29], v[28:29]
	v_div_scale_f64 v[26:27], s[8:9], v[2:3], v[2:3], -v[0:1]
	v_rcp_f64_e32 v[28:29], v[26:27]
	v_fma_f64 v[30:31], -v[26:27], v[28:29], 1.0
	v_fmac_f64_e32 v[28:29], v[28:29], v[30:31]
	v_fma_f64 v[30:31], -v[26:27], v[28:29], 1.0
	v_fmac_f64_e32 v[28:29], v[28:29], v[30:31]
	v_div_scale_f64 v[30:31], vcc, -v[0:1], v[2:3], -v[0:1]
	v_mul_f64 v[32:33], v[30:31], v[28:29]
	v_fma_f64 v[26:27], -v[26:27], v[32:33], v[30:31]
	s_nop 1
	v_div_fmas_f64 v[26:27], v[26:27], v[28:29], v[32:33]
	v_div_fixup_f64 v[42:43], v[26:27], v[2:3], -v[0:1]
                                        ; implicit-def: $vgpr2_vgpr3
                                        ; implicit-def: $vgpr0_vgpr1
                                        ; implicit-def: $vgpr26_vgpr27
.LBB47_14:
	s_andn2_saveexec_b64 s[6:7], s[6:7]
	s_cbranch_execz .LBB47_16
; %bb.15:
	v_add_f64 v[2:3], v[2:3], v[2:3]
	v_add_f64 v[0:1], v[0:1], -v[26:27]
	v_div_scale_f64 v[26:27], s[8:9], v[0:1], v[0:1], v[2:3]
	v_rcp_f64_e32 v[28:29], v[26:27]
	v_fma_f64 v[30:31], -v[26:27], v[28:29], 1.0
	v_fmac_f64_e32 v[28:29], v[28:29], v[30:31]
	v_fma_f64 v[30:31], -v[26:27], v[28:29], 1.0
	v_fmac_f64_e32 v[28:29], v[28:29], v[30:31]
	v_div_scale_f64 v[30:31], vcc, v[2:3], v[0:1], v[2:3]
	v_mul_f64 v[32:33], v[30:31], v[28:29]
	v_fma_f64 v[26:27], -v[26:27], v[32:33], v[30:31]
	s_nop 1
	v_div_fmas_f64 v[26:27], v[26:27], v[28:29], v[32:33]
	v_div_fixup_f64 v[42:43], v[26:27], v[0:1], v[2:3]
.LBB47_16:
	s_or_b64 exec, exec, s[6:7]
	v_mul_f64 v[40:41], v[22:23], -0.5
	v_add_f64 v[2:3], v[38:39], v[42:43]
	s_mov_b64 s[6:7], 0
                                        ; implicit-def: $vgpr46_vgpr47
                                        ; implicit-def: $vgpr30_vgpr31
                                        ; implicit-def: $vgpr32_vgpr33
                                        ; implicit-def: $vgpr28_vgpr29
                                        ; implicit-def: $vgpr0
.LBB47_17:
	s_or_saveexec_b64 s[4:5], s[4:5]
	v_pk_mov_b32 v[44:45], s[6:7], s[6:7] op_sel:[0,1]
	v_pk_mov_b32 v[26:27], v[38:39], v[38:39] op_sel:[0,1]
	s_xor_b64 exec, exec, s[4:5]
	s_cbranch_execz .LBB47_23
; %bb.18:
	v_mul_f64 v[18:19], v[22:23], v[30:31]
	v_add_f64 v[2:3], v[46:47], v[30:31]
	v_mul_f64 v[26:27], v[18:19], -4.0
	v_add_f64 v[2:3], v[2:3], v[32:33]
	v_mul_f64 v[26:27], v[28:29], v[26:27]
	s_mov_b32 s6, 0
	v_fmac_f64_e32 v[26:27], v[2:3], v[2:3]
	s_brev_b32 s7, 8
	v_cmp_lt_f64_e64 vcc, |v[26:27]|, s[6:7]
	v_cndmask_b32_e64 v1, 0, 1, vcc
	v_lshlrev_b32_e32 v1, 8, v1
	v_ldexp_f64 v[26:27], |v[26:27]|, v1
	v_rsq_f64_e32 v[30:31], v[26:27]
	v_mov_b32_e32 v1, 0xffffff80
	v_cndmask_b32_e32 v1, 0, v1, vcc
	v_mul_f64 v[32:33], v[26:27], v[30:31]
	v_mul_f64 v[30:31], v[30:31], 0.5
	v_fma_f64 v[40:41], -v[30:31], v[32:33], 0.5
	v_fmac_f64_e32 v[32:33], v[32:33], v[40:41]
	v_fma_f64 v[42:43], -v[32:33], v[32:33], v[26:27]
	v_fmac_f64_e32 v[30:31], v[30:31], v[40:41]
	v_fmac_f64_e32 v[32:33], v[42:43], v[30:31]
	v_fma_f64 v[40:41], -v[32:33], v[32:33], v[26:27]
	v_fmac_f64_e32 v[32:33], v[40:41], v[30:31]
	v_ldexp_f64 v[30:31], v[32:33], v1
	v_mov_b32_e32 v1, 0x260
	v_cmp_class_f64_e32 vcc, v[26:27], v1
	v_cndmask_b32_e32 v27, v31, v27, vcc
	v_cndmask_b32_e32 v26, v30, v26, vcc
	v_cmp_nlt_f64_e32 vcc, 0, v[2:3]
                                        ; implicit-def: $vgpr42_vgpr43
	s_and_saveexec_b64 s[6:7], vcc
	s_xor_b64 s[6:7], exec, s[6:7]
	s_cbranch_execz .LBB47_20
; %bb.19:
	v_add_f64 v[2:3], v[2:3], -v[26:27]
	v_add_f64 v[18:19], v[28:29], v[28:29]
	v_div_scale_f64 v[26:27], s[8:9], v[18:19], v[18:19], v[2:3]
	v_rcp_f64_e32 v[28:29], v[26:27]
	v_fma_f64 v[30:31], -v[26:27], v[28:29], 1.0
	v_fmac_f64_e32 v[28:29], v[28:29], v[30:31]
	v_fma_f64 v[30:31], -v[26:27], v[28:29], 1.0
	v_fmac_f64_e32 v[28:29], v[28:29], v[30:31]
	v_div_scale_f64 v[30:31], vcc, v[2:3], v[18:19], v[2:3]
	v_mul_f64 v[32:33], v[30:31], v[28:29]
	v_fma_f64 v[26:27], -v[26:27], v[32:33], v[30:31]
	s_nop 1
	v_div_fmas_f64 v[26:27], v[26:27], v[28:29], v[32:33]
	v_div_fixup_f64 v[42:43], v[26:27], v[18:19], v[2:3]
                                        ; implicit-def: $vgpr18_vgpr19
                                        ; implicit-def: $vgpr2_vgpr3
                                        ; implicit-def: $vgpr26_vgpr27
.LBB47_20:
	s_andn2_saveexec_b64 s[6:7], s[6:7]
	s_cbranch_execz .LBB47_22
; %bb.21:
	v_add_f64 v[18:19], v[18:19], v[18:19]
	v_add_f64 v[2:3], v[2:3], v[26:27]
	v_div_scale_f64 v[26:27], s[8:9], v[2:3], v[2:3], v[18:19]
	v_rcp_f64_e32 v[28:29], v[26:27]
	v_fma_f64 v[30:31], -v[26:27], v[28:29], 1.0
	v_fmac_f64_e32 v[28:29], v[28:29], v[30:31]
	v_fma_f64 v[30:31], -v[26:27], v[28:29], 1.0
	v_fmac_f64_e32 v[28:29], v[28:29], v[30:31]
	v_div_scale_f64 v[30:31], vcc, v[18:19], v[2:3], v[18:19]
	v_mul_f64 v[32:33], v[30:31], v[28:29]
	v_fma_f64 v[26:27], -v[26:27], v[32:33], v[30:31]
	s_nop 1
	v_div_fmas_f64 v[26:27], v[26:27], v[28:29], v[32:33]
	v_div_fixup_f64 v[42:43], v[26:27], v[2:3], v[18:19]
.LBB47_22:
	s_or_b64 exec, exec, s[6:7]
	v_mul_f64 v[44:45], v[22:23], 0.5
	v_add_f64 v[2:3], v[16:17], v[42:43]
	v_pk_mov_b32 v[40:41], 0, 0
	v_mov_b32_e32 v18, v0
	v_pk_mov_b32 v[26:27], v[16:17], v[16:17] op_sel:[0,1]
.LBB47_23:
	s_or_b64 exec, exec, s[4:5]
	v_cmp_lt_i32_e32 vcc, -1, v18
	s_and_saveexec_b64 s[4:5], vcc
	s_cbranch_execz .LBB47_26
; %bb.24:
	v_add_u32_e32 v19, 1, v18
	s_mov_b64 s[6:7], 0
	v_pk_mov_b32 v[0:1], v[8:9], v[8:9] op_sel:[0,1]
.LBB47_25:                              ; =>This Inner Loop Header: Depth=1
	global_load_dwordx2 v[28:29], v[0:1], off
	v_add_u32_e32 v19, -1, v19
	v_cmp_eq_u32_e32 vcc, 0, v19
	s_or_b64 s[6:7], vcc, s[6:7]
	s_waitcnt vmcnt(0)
	v_add_f64 v[28:29], v[28:29], -v[26:27]
	global_store_dwordx2 v[0:1], v[28:29], off
	v_add_co_u32_e32 v0, vcc, 8, v0
	v_addc_co_u32_e32 v1, vcc, 0, v1, vcc
	s_andn2_b64 exec, exec, s[6:7]
	s_cbranch_execnz .LBB47_25
.LBB47_26:
	s_or_b64 exec, exec, s[4:5]
	v_cmp_le_i32_e64 s[8:9], v14, v18
	v_cmp_gt_i32_e64 s[4:5], v14, v18
	s_and_saveexec_b64 s[6:7], s[4:5]
	s_cbranch_execz .LBB47_29
; %bb.27:
	v_mov_b32_e32 v0, s29
	v_add_co_u32_e32 v19, vcc, s28, v36
	v_addc_co_u32_e32 v28, vcc, v0, v37, vcc
	v_lshlrev_b64 v[0:1], 3, v[14:15]
	v_add_co_u32_e32 v0, vcc, v19, v0
	s_add_u32 s10, s14, s26
	v_addc_co_u32_e32 v1, vcc, v28, v1, vcc
	s_addc_u32 s11, s15, s27
	v_mov_b32_e32 v19, s11
	v_add_co_u32_e32 v0, vcc, s10, v0
	v_addc_co_u32_e32 v1, vcc, v19, v1, vcc
	s_mov_b64 s[10:11], 0
	v_mov_b32_e32 v19, v14
.LBB47_28:                              ; =>This Inner Loop Header: Depth=1
	global_load_dwordx2 v[28:29], v[0:1], off
	v_add_u32_e32 v19, -1, v19
	v_cmp_le_i32_e32 vcc, v19, v18
	s_or_b64 s[10:11], vcc, s[10:11]
	s_waitcnt vmcnt(0)
	v_add_f64 v[28:29], v[28:29], -v[26:27]
	global_store_dwordx2 v[0:1], v[28:29], off
	v_add_co_u32_e32 v0, vcc, -8, v0
	v_addc_co_u32_e32 v1, vcc, -1, v1, vcc
	s_andn2_b64 exec, exec, s[10:11]
	s_cbranch_execnz .LBB47_28
.LBB47_29:
	s_or_b64 exec, exec, s[6:7]
	v_ashrrev_i32_e32 v19, 31, v18
	v_lshlrev_b64 v[30:31], 3, v[18:19]
	v_add_co_u32_e32 v28, vcc, v8, v30
	v_addc_co_u32_e32 v29, vcc, v9, v31, vcc
	global_load_dwordx2 v[32:33], v[28:29], off
	v_pk_mov_b32 v[46:47], 0, 0
	v_cmp_lt_i32_e64 s[6:7], 0, v18
	v_pk_mov_b32 v[0:1], v[46:47], v[46:47] op_sel:[0,1]
	s_waitcnt vmcnt(0)
	v_add_f64 v[32:33], v[32:33], -v[42:43]
	global_store_dwordx2 v[28:29], v[32:33], off
	v_pk_mov_b32 v[32:33], v[46:47], v[46:47] op_sel:[0,1]
	s_and_saveexec_b64 s[10:11], s[6:7]
	s_cbranch_execz .LBB47_33
; %bb.30:
	v_pk_mov_b32 v[46:47], 0, 0
	s_mov_b64 s[20:21], 0
	v_pk_mov_b32 v[48:49], v[12:13], v[12:13] op_sel:[0,1]
	v_pk_mov_b32 v[50:51], v[8:9], v[8:9] op_sel:[0,1]
	v_mov_b32_e32 v19, v18
	v_pk_mov_b32 v[0:1], v[46:47], v[46:47] op_sel:[0,1]
	v_pk_mov_b32 v[32:33], v[46:47], v[46:47] op_sel:[0,1]
.LBB47_31:                              ; =>This Inner Loop Header: Depth=1
	global_load_dwordx2 v[52:53], v[50:51], off
	v_add_u32_e32 v19, -1, v19
	v_cmp_eq_u32_e32 vcc, 0, v19
	s_or_b64 s[20:21], vcc, s[20:21]
	s_waitcnt vmcnt(0)
	v_add_f64 v[52:53], v[52:53], -v[42:43]
	global_store_dwordx2 v[50:51], v[52:53], off
	global_load_dwordx2 v[54:55], v[48:49], off
	v_add_co_u32_e32 v50, vcc, 8, v50
	v_addc_co_u32_e32 v51, vcc, 0, v51, vcc
	v_add_co_u32_e32 v48, vcc, 8, v48
	v_addc_co_u32_e32 v49, vcc, 0, v49, vcc
	s_waitcnt vmcnt(0)
	v_div_scale_f64 v[56:57], s[30:31], v[52:53], v[52:53], v[54:55]
	v_rcp_f64_e32 v[58:59], v[56:57]
	v_div_scale_f64 v[60:61], vcc, v[54:55], v[52:53], v[54:55]
	v_fma_f64 v[62:63], -v[56:57], v[58:59], 1.0
	v_fmac_f64_e32 v[58:59], v[58:59], v[62:63]
	v_fma_f64 v[62:63], -v[56:57], v[58:59], 1.0
	v_fmac_f64_e32 v[58:59], v[58:59], v[62:63]
	v_mul_f64 v[62:63], v[60:61], v[58:59]
	v_fma_f64 v[56:57], -v[56:57], v[62:63], v[60:61]
	v_div_fmas_f64 v[56:57], v[56:57], v[58:59], v[62:63]
	v_div_fixup_f64 v[52:53], v[56:57], v[52:53], v[54:55]
	v_fmac_f64_e32 v[32:33], v[54:55], v[52:53]
	v_fmac_f64_e32 v[46:47], v[52:53], v[52:53]
	v_add_f64 v[0:1], v[0:1], v[32:33]
	s_andn2_b64 exec, exec, s[20:21]
	s_cbranch_execnz .LBB47_31
; %bb.32:
	s_or_b64 exec, exec, s[20:21]
.LBB47_33:
	s_or_b64 exec, exec, s[10:11]
	v_pk_mov_b32 v[52:53], 0, 0
	v_and_b32_e32 v1, 0x7fffffff, v1
	v_pk_mov_b32 v[50:51], v[52:53], v[52:53] op_sel:[0,1]
	s_and_saveexec_b64 s[10:11], s[4:5]
	s_cbranch_execz .LBB47_37
; %bb.34:
	v_mov_b32_e32 v19, s29
	v_add_co_u32_e32 v48, vcc, s28, v36
	v_addc_co_u32_e32 v19, vcc, v19, v37, vcc
	v_lshlrev_b64 v[50:51], 3, v[14:15]
	v_add_co_u32_e32 v48, vcc, v48, v50
	s_add_u32 s20, s14, s26
	v_addc_co_u32_e32 v19, vcc, v19, v51, vcc
	s_addc_u32 s21, s15, s27
	v_mov_b32_e32 v49, s21
	v_add_co_u32_e32 v48, vcc, s20, v48
	s_add_u32 s20, s24, s22
	v_addc_co_u32_e32 v49, vcc, v49, v19, vcc
	s_addc_u32 s21, s25, s23
	v_mov_b32_e32 v19, s21
	v_add_co_u32_e32 v52, vcc, s20, v34
	v_addc_co_u32_e32 v19, vcc, v19, v35, vcc
	v_add_co_u32_e32 v50, vcc, v52, v50
	v_addc_co_u32_e32 v19, vcc, v19, v51, vcc
	v_mov_b32_e32 v51, s13
	v_add_co_u32_e32 v54, vcc, s12, v50
	v_pk_mov_b32 v[52:53], 0, 0
	v_addc_co_u32_e32 v55, vcc, v51, v19, vcc
	s_mov_b64 s[20:21], 0
	v_mov_b32_e32 v19, v14
	v_pk_mov_b32 v[50:51], v[52:53], v[52:53] op_sel:[0,1]
.LBB47_35:                              ; =>This Inner Loop Header: Depth=1
	global_load_dwordx2 v[56:57], v[48:49], off
	v_add_u32_e32 v19, -1, v19
	v_cmp_le_i32_e32 vcc, v19, v18
	s_or_b64 s[20:21], vcc, s[20:21]
	s_waitcnt vmcnt(0)
	v_add_f64 v[56:57], v[56:57], -v[42:43]
	global_store_dwordx2 v[48:49], v[56:57], off
	global_load_dwordx2 v[58:59], v[54:55], off
	v_add_co_u32_e32 v48, vcc, -8, v48
	v_addc_co_u32_e32 v49, vcc, -1, v49, vcc
	v_add_co_u32_e32 v54, vcc, -8, v54
	v_addc_co_u32_e32 v55, vcc, -1, v55, vcc
	s_waitcnt vmcnt(0)
	v_div_scale_f64 v[60:61], s[30:31], v[56:57], v[56:57], v[58:59]
	v_rcp_f64_e32 v[62:63], v[60:61]
	v_div_scale_f64 v[64:65], vcc, v[58:59], v[56:57], v[58:59]
	v_fma_f64 v[66:67], -v[60:61], v[62:63], 1.0
	v_fmac_f64_e32 v[62:63], v[62:63], v[66:67]
	v_fma_f64 v[66:67], -v[60:61], v[62:63], 1.0
	v_fmac_f64_e32 v[62:63], v[62:63], v[66:67]
	v_mul_f64 v[66:67], v[64:65], v[62:63]
	v_fma_f64 v[60:61], -v[60:61], v[66:67], v[64:65]
	v_div_fmas_f64 v[60:61], v[60:61], v[62:63], v[66:67]
	v_div_fixup_f64 v[56:57], v[60:61], v[56:57], v[58:59]
	v_fmac_f64_e32 v[50:51], v[58:59], v[56:57]
	v_fmac_f64_e32 v[52:53], v[56:57], v[56:57]
	v_add_f64 v[0:1], v[0:1], v[50:51]
	s_andn2_b64 exec, exec, s[20:21]
	s_cbranch_execnz .LBB47_35
; %bb.36:
	s_or_b64 exec, exec, s[20:21]
.LBB47_37:
	s_or_b64 exec, exec, s[10:11]
	v_add_co_u32_e32 v30, vcc, v12, v30
	v_addc_co_u32_e32 v31, vcc, v13, v31, vcc
	global_load_dwordx2 v[48:49], v[28:29], off
	global_load_dwordx2 v[56:57], v[30:31], off
	v_add_f64 v[54:55], v[46:47], v[52:53]
	v_add_f64 v[58:59], v[24:25], v[32:33]
	v_add_f64 v[46:47], v[50:51], -v[32:33]
	v_add_f64 v[32:33], v[24:25], v[24:25]
	v_add_f64 v[50:51], v[58:59], v[50:51]
	v_pk_mov_b32 v[58:59], v[32:33], v[32:33] op_sel:[0,1]
	v_fmac_f64_e32 v[58:59], 0x40200000, v[46:47]
	s_waitcnt vmcnt(0)
	v_div_scale_f64 v[52:53], s[10:11], v[48:49], v[48:49], v[56:57]
	v_rcp_f64_e32 v[60:61], v[52:53]
	v_div_scale_f64 v[46:47], vcc, v[56:57], v[48:49], v[56:57]
	s_mov_b32 s10, 0
	v_fma_f64 v[62:63], -v[52:53], v[60:61], 1.0
	v_fmac_f64_e32 v[60:61], v[60:61], v[62:63]
	v_fma_f64 v[62:63], -v[52:53], v[60:61], 1.0
	v_fmac_f64_e32 v[60:61], v[60:61], v[62:63]
	v_mul_f64 v[62:63], v[46:47], v[60:61]
	v_fma_f64 v[46:47], -v[52:53], v[62:63], v[46:47]
	v_div_fmas_f64 v[46:47], v[46:47], v[60:61], v[62:63]
	v_div_fixup_f64 v[46:47], v[46:47], v[48:49], v[56:57]
	v_mul_f64 v[60:61], v[56:57], v[46:47]
	s_mov_b32 s11, 0x40080000
	v_fma_f64 v[52:53], v[46:47], v[46:47], v[54:55]
	v_fmac_f64_e32 v[50:51], v[56:57], v[46:47]
	v_fma_f64 v[46:47], |v[60:61]|, s[10:11], v[58:59]
	v_fma_f64 v[46:47], |v[42:43]|, v[52:53], v[46:47]
	v_add_f64 v[0:1], v[0:1], v[46:47]
	v_mul_f64 v[0:1], v[0:1], s[18:19]
	v_cmp_nle_f64_e64 s[10:11], |v[50:51]|, v[0:1]
	s_and_saveexec_b64 s[20:21], s[10:11]
	s_cbranch_execz .LBB47_117
; %bb.38:
	v_cndmask_b32_e64 v19, 8, 0, s[0:1]
	v_add_co_u32_e32 v46, vcc, v20, v19
	v_addc_co_u32_e32 v47, vcc, 0, v21, vcc
	global_load_dwordx2 v[46:47], v[46:47], off
	v_add_f64 v[16:17], v[16:17], -v[38:39]
	global_load_dwordx4 v[0:3], v[10:11], off
	v_cndmask_b32_e64 v39, v23, v17, s[0:1]
	v_cndmask_b32_e64 v38, v22, v16, s[0:1]
	s_waitcnt vmcnt(1)
	v_mul_f64 v[38:39], v[38:39], v[46:47]
	v_mul_f64 v[38:39], v[46:47], v[38:39]
	s_waitcnt vmcnt(0)
	v_cndmask_b32_e64 v57, v3, v1, s[0:1]
	v_cndmask_b32_e64 v56, v2, v0, s[0:1]
	v_div_scale_f64 v[46:47], s[10:11], v[56:57], v[56:57], v[38:39]
	v_rcp_f64_e32 v[64:65], v[46:47]
	v_div_scale_f64 v[68:69], vcc, v[38:39], v[56:57], v[38:39]
	v_mul_f64 v[62:63], v[0:1], v[2:3]
	v_fma_f64 v[70:71], -v[46:47], v[64:65], 1.0
	v_fmac_f64_e32 v[64:65], v[64:65], v[70:71]
	v_fma_f64 v[70:71], -v[46:47], v[64:65], 1.0
	v_fmac_f64_e32 v[64:65], v[64:65], v[70:71]
	v_mul_f64 v[70:71], v[68:69], v[64:65]
	v_fma_f64 v[46:47], -v[46:47], v[70:71], v[68:69]
	v_div_fmas_f64 v[46:47], v[46:47], v[64:65], v[70:71]
	v_div_fixup_f64 v[46:47], v[46:47], v[56:57], v[38:39]
	v_div_scale_f64 v[64:65], s[10:11], v[56:57], v[56:57], v[46:47]
	v_rcp_f64_e32 v[68:69], v[64:65]
	v_add_f64 v[60:61], v[0:1], v[2:3]
	v_mul_f64 v[66:67], v[52:53], v[62:63]
	v_fma_f64 v[38:39], v[50:51], v[60:61], -v[66:67]
	v_fma_f64 v[66:67], -v[64:65], v[68:69], 1.0
	v_fmac_f64_e32 v[68:69], v[68:69], v[66:67]
	v_fma_f64 v[66:67], -v[64:65], v[68:69], 1.0
	v_div_scale_f64 v[60:61], vcc, v[46:47], v[56:57], v[46:47]
	v_fmac_f64_e32 v[68:69], v[68:69], v[66:67]
	v_mul_f64 v[66:67], v[60:61], v[68:69]
	v_fma_f64 v[60:61], -v[64:65], v[66:67], v[60:61]
	v_cndmask_b32_e64 v59, v1, v3, s[0:1]
	v_cndmask_b32_e64 v58, v0, v2, s[0:1]
	v_div_fmas_f64 v[60:61], v[60:61], v[68:69], v[66:67]
	v_fma_f64 v[58:59], -v[52:53], v[58:59], v[50:51]
	v_div_fixup_f64 v[46:47], v[60:61], v[56:57], v[46:47]
	v_add_f64 v[58:59], v[58:59], -v[46:47]
	v_mul_f64 v[56:57], v[50:51], v[62:63]
	v_cmp_neq_f64_e32 vcc, 0, v[58:59]
                                        ; implicit-def: $vgpr46_vgpr47
	s_and_saveexec_b64 s[10:11], vcc
	s_xor_b64 s[10:11], exec, s[10:11]
	s_cbranch_execz .LBB47_44
; %bb.39:
	v_mul_f64 v[0:1], v[56:57], -4.0
	v_mul_f64 v[0:1], v[0:1], v[58:59]
	s_mov_b32 s30, 0
	v_fmac_f64_e32 v[0:1], v[38:39], v[38:39]
	s_brev_b32 s31, 8
	v_cmp_lt_f64_e64 vcc, |v[0:1]|, s[30:31]
	v_cndmask_b32_e64 v2, 0, 1, vcc
	v_lshlrev_b32_e32 v2, 8, v2
	v_ldexp_f64 v[0:1], |v[0:1]|, v2
	v_rsq_f64_e32 v[2:3], v[0:1]
	v_mov_b32_e32 v19, 0x260
	v_mul_f64 v[46:47], v[0:1], v[2:3]
	v_mul_f64 v[2:3], v[2:3], 0.5
	v_fma_f64 v[54:55], -v[2:3], v[46:47], 0.5
	v_fmac_f64_e32 v[46:47], v[46:47], v[54:55]
	v_fma_f64 v[60:61], -v[46:47], v[46:47], v[0:1]
	v_fmac_f64_e32 v[2:3], v[2:3], v[54:55]
	v_fmac_f64_e32 v[46:47], v[60:61], v[2:3]
	v_fma_f64 v[54:55], -v[46:47], v[46:47], v[0:1]
	v_fmac_f64_e32 v[46:47], v[54:55], v[2:3]
	v_mov_b32_e32 v2, 0xffffff80
	v_cndmask_b32_e32 v2, 0, v2, vcc
	v_ldexp_f64 v[2:3], v[46:47], v2
	v_cmp_class_f64_e32 vcc, v[0:1], v19
	v_cndmask_b32_e32 v1, v3, v1, vcc
	v_cndmask_b32_e32 v0, v2, v0, vcc
	v_cmp_ge_f64_e32 vcc, 0, v[38:39]
                                        ; implicit-def: $vgpr46_vgpr47
	s_and_saveexec_b64 s[30:31], vcc
	s_xor_b64 s[30:31], exec, s[30:31]
	s_cbranch_execz .LBB47_41
; %bb.40:
	v_add_f64 v[0:1], v[38:39], -v[0:1]
	v_add_f64 v[2:3], v[58:59], v[58:59]
	v_div_scale_f64 v[38:39], s[34:35], v[2:3], v[2:3], v[0:1]
	v_rcp_f64_e32 v[46:47], v[38:39]
	v_fma_f64 v[54:55], -v[38:39], v[46:47], 1.0
	v_fmac_f64_e32 v[46:47], v[46:47], v[54:55]
	v_fma_f64 v[54:55], -v[38:39], v[46:47], 1.0
	v_fmac_f64_e32 v[46:47], v[46:47], v[54:55]
	v_div_scale_f64 v[54:55], vcc, v[0:1], v[2:3], v[0:1]
	v_mul_f64 v[56:57], v[54:55], v[46:47]
	v_fma_f64 v[38:39], -v[38:39], v[56:57], v[54:55]
	s_nop 1
	v_div_fmas_f64 v[38:39], v[38:39], v[46:47], v[56:57]
	v_div_fixup_f64 v[46:47], v[38:39], v[2:3], v[0:1]
                                        ; implicit-def: $vgpr56_vgpr57
                                        ; implicit-def: $vgpr38_vgpr39
                                        ; implicit-def: $vgpr0_vgpr1
.LBB47_41:
	s_andn2_saveexec_b64 s[30:31], s[30:31]
	s_cbranch_execz .LBB47_43
; %bb.42:
	v_add_f64 v[2:3], v[56:57], v[56:57]
	v_add_f64 v[0:1], v[38:39], v[0:1]
	v_div_scale_f64 v[38:39], s[34:35], v[0:1], v[0:1], v[2:3]
	v_rcp_f64_e32 v[46:47], v[38:39]
	v_fma_f64 v[54:55], -v[38:39], v[46:47], 1.0
	v_fmac_f64_e32 v[46:47], v[46:47], v[54:55]
	v_fma_f64 v[54:55], -v[38:39], v[46:47], 1.0
	v_fmac_f64_e32 v[46:47], v[46:47], v[54:55]
	v_div_scale_f64 v[54:55], vcc, v[2:3], v[0:1], v[2:3]
	v_mul_f64 v[56:57], v[54:55], v[46:47]
	v_fma_f64 v[38:39], -v[38:39], v[56:57], v[54:55]
	s_nop 1
	v_div_fmas_f64 v[38:39], v[38:39], v[46:47], v[56:57]
	v_div_fixup_f64 v[46:47], v[38:39], v[0:1], v[2:3]
.LBB47_43:
	s_or_b64 exec, exec, s[30:31]
                                        ; implicit-def: $vgpr38_vgpr39
                                        ; implicit-def: $vgpr56_vgpr57
                                        ; implicit-def: $vgpr2_vgpr3
                                        ; implicit-def: $vgpr54_vgpr55
.LBB47_44:
	s_andn2_saveexec_b64 s[10:11], s[10:11]
	s_cbranch_execz .LBB47_52
; %bb.45:
	v_cmp_eq_f64_e32 vcc, 0, v[38:39]
	s_and_saveexec_b64 s[30:31], vcc
	s_cbranch_execz .LBB47_51
; %bb.46:
                                        ; implicit-def: $vgpr38_vgpr39
	s_and_saveexec_b64 s[34:35], s[2:3]
	s_xor_b64 s[34:35], exec, s[34:35]
	s_cbranch_execz .LBB47_48
; %bb.47:
	global_load_dwordx2 v[2:3], v[20:21], off offset:8
	v_mul_f64 v[0:1], v[0:1], v[0:1]
	s_waitcnt vmcnt(0)
	v_mul_f64 v[38:39], v[2:3], v[2:3]
	v_fmac_f64_e32 v[38:39], v[54:55], v[0:1]
                                        ; implicit-def: $vgpr2_vgpr3
                                        ; implicit-def: $vgpr54_vgpr55
.LBB47_48:
	s_andn2_saveexec_b64 s[34:35], s[34:35]
	s_cbranch_execz .LBB47_50
; %bb.49:
	global_load_dwordx2 v[0:1], v[20:21], off
	s_waitcnt vmcnt(0)
	v_mul_f64 v[38:39], v[0:1], v[0:1]
	v_mul_f64 v[0:1], v[2:3], v[2:3]
	v_fmac_f64_e32 v[38:39], v[54:55], v[0:1]
.LBB47_50:
	s_or_b64 exec, exec, s[34:35]
.LBB47_51:
	s_or_b64 exec, exec, s[30:31]
	v_div_scale_f64 v[0:1], s[30:31], v[38:39], v[38:39], v[56:57]
	v_rcp_f64_e32 v[2:3], v[0:1]
	v_div_scale_f64 v[46:47], vcc, v[56:57], v[38:39], v[56:57]
	v_fma_f64 v[54:55], -v[0:1], v[2:3], 1.0
	v_fmac_f64_e32 v[2:3], v[2:3], v[54:55]
	v_fma_f64 v[54:55], -v[0:1], v[2:3], 1.0
	v_fmac_f64_e32 v[2:3], v[2:3], v[54:55]
	v_mul_f64 v[54:55], v[46:47], v[2:3]
	v_fma_f64 v[0:1], -v[0:1], v[54:55], v[46:47]
	v_div_fmas_f64 v[0:1], v[0:1], v[2:3], v[54:55]
	v_div_fixup_f64 v[46:47], v[0:1], v[38:39], v[56:57]
.LBB47_52:
	s_or_b64 exec, exec, s[10:11]
	v_mul_f64 v[0:1], v[50:51], v[46:47]
	v_cmp_le_f64_e32 vcc, 0, v[0:1]
	s_and_saveexec_b64 s[10:11], vcc
; %bb.53:
	v_div_scale_f64 v[0:1], s[30:31], v[52:53], v[52:53], -v[50:51]
	v_rcp_f64_e32 v[2:3], v[0:1]
	v_div_scale_f64 v[38:39], vcc, -v[50:51], v[52:53], -v[50:51]
	v_fma_f64 v[46:47], -v[0:1], v[2:3], 1.0
	v_fmac_f64_e32 v[2:3], v[2:3], v[46:47]
	v_fma_f64 v[46:47], -v[0:1], v[2:3], 1.0
	v_fmac_f64_e32 v[2:3], v[2:3], v[46:47]
	v_mul_f64 v[46:47], v[38:39], v[2:3]
	v_fma_f64 v[0:1], -v[0:1], v[46:47], v[38:39]
	v_div_fmas_f64 v[0:1], v[0:1], v[2:3], v[46:47]
	v_div_fixup_f64 v[46:47], v[0:1], v[52:53], -v[50:51]
; %bb.54:
	s_or_b64 exec, exec, s[10:11]
	v_cmp_lt_f64_e32 vcc, v[40:41], v[42:43]
	v_cndmask_b32_e32 v0, v40, v42, vcc
	v_cndmask_b32_e32 v1, v41, v43, vcc
	v_cmp_nge_f64_e32 vcc, 0, v[50:51]
	v_cndmask_b32_e32 v39, v1, v41, vcc
	v_cndmask_b32_e32 v38, v0, v40, vcc
	v_cmp_lt_f64_e32 vcc, 0, v[50:51]
	v_cmp_lt_f64_e64 s[10:11], v[42:43], v[44:45]
	s_and_b64 vcc, vcc, s[10:11]
	v_cndmask_b32_e32 v41, v45, v43, vcc
	v_cndmask_b32_e32 v40, v44, v42, vcc
	v_add_f64 v[0:1], v[42:43], v[46:47]
	v_cmp_gt_f64_e32 vcc, v[0:1], v[40:41]
	v_cmp_lt_f64_e64 s[10:11], v[0:1], v[38:39]
	s_or_b64 s[30:31], vcc, s[10:11]
	s_and_saveexec_b64 s[10:11], s[30:31]
	s_cbranch_execz .LBB47_60
; %bb.55:
	v_cmp_ngt_f64_e32 vcc, 0, v[50:51]
                                        ; implicit-def: $vgpr46_vgpr47
	s_and_saveexec_b64 s[30:31], vcc
	s_xor_b64 s[30:31], exec, s[30:31]
; %bb.56:
	v_add_f64 v[0:1], v[38:39], -v[42:43]
	v_mul_f64 v[46:47], v[0:1], 0.5
; %bb.57:
	s_andn2_saveexec_b64 s[30:31], s[30:31]
; %bb.58:
	v_add_f64 v[0:1], v[40:41], -v[42:43]
	v_mul_f64 v[46:47], v[0:1], 0.5
; %bb.59:
	s_or_b64 exec, exec, s[30:31]
.LBB47_60:
	s_or_b64 exec, exec, s[10:11]
	v_add_f64 v[0:1], v[48:49], -v[46:47]
	v_pk_mov_b32 v[44:45], 0, 0
	global_store_dwordx2 v[28:29], v[0:1], off
	v_pk_mov_b32 v[0:1], v[44:45], v[44:45] op_sel:[0,1]
	v_pk_mov_b32 v[2:3], v[44:45], v[44:45] op_sel:[0,1]
	s_and_saveexec_b64 s[10:11], s[6:7]
	s_cbranch_execz .LBB47_64
; %bb.61:
	v_pk_mov_b32 v[44:45], 0, 0
	s_mov_b64 s[30:31], 0
	v_pk_mov_b32 v[48:49], v[12:13], v[12:13] op_sel:[0,1]
	v_pk_mov_b32 v[52:53], v[8:9], v[8:9] op_sel:[0,1]
	v_mov_b32_e32 v19, v18
	v_pk_mov_b32 v[0:1], v[44:45], v[44:45] op_sel:[0,1]
	v_pk_mov_b32 v[2:3], v[44:45], v[44:45] op_sel:[0,1]
.LBB47_62:                              ; =>This Inner Loop Header: Depth=1
	global_load_dwordx2 v[54:55], v[52:53], off
	v_add_u32_e32 v19, -1, v19
	v_cmp_eq_u32_e32 vcc, 0, v19
	s_or_b64 s[30:31], vcc, s[30:31]
	s_waitcnt vmcnt(0)
	v_add_f64 v[54:55], v[54:55], -v[46:47]
	global_store_dwordx2 v[52:53], v[54:55], off
	global_load_dwordx2 v[56:57], v[48:49], off
	v_add_co_u32_e32 v52, vcc, 8, v52
	v_addc_co_u32_e32 v53, vcc, 0, v53, vcc
	v_add_co_u32_e32 v48, vcc, 8, v48
	v_addc_co_u32_e32 v49, vcc, 0, v49, vcc
	s_waitcnt vmcnt(0)
	v_div_scale_f64 v[58:59], s[34:35], v[54:55], v[54:55], v[56:57]
	v_rcp_f64_e32 v[60:61], v[58:59]
	v_div_scale_f64 v[62:63], vcc, v[56:57], v[54:55], v[56:57]
	v_fma_f64 v[64:65], -v[58:59], v[60:61], 1.0
	v_fmac_f64_e32 v[60:61], v[60:61], v[64:65]
	v_fma_f64 v[64:65], -v[58:59], v[60:61], 1.0
	v_fmac_f64_e32 v[60:61], v[60:61], v[64:65]
	v_mul_f64 v[64:65], v[62:63], v[60:61]
	v_fma_f64 v[58:59], -v[58:59], v[64:65], v[62:63]
	v_div_fmas_f64 v[58:59], v[58:59], v[60:61], v[64:65]
	v_div_fixup_f64 v[54:55], v[58:59], v[54:55], v[56:57]
	v_fmac_f64_e32 v[2:3], v[56:57], v[54:55]
	v_fmac_f64_e32 v[44:45], v[54:55], v[54:55]
	v_add_f64 v[0:1], v[0:1], v[2:3]
	s_andn2_b64 exec, exec, s[30:31]
	s_cbranch_execnz .LBB47_62
; %bb.63:
	s_or_b64 exec, exec, s[30:31]
.LBB47_64:
	s_or_b64 exec, exec, s[10:11]
	v_and_b32_e32 v1, 0x7fffffff, v1
                                        ; implicit-def: $sgpr10_sgpr11
                                        ; implicit-def: $vgpr56_vgpr57
                                        ; implicit-def: $vgpr58_vgpr59
	s_and_saveexec_b64 s[30:31], s[8:9]
	s_xor_b64 s[8:9], exec, s[30:31]
	s_cbranch_execz .LBB47_66
; %bb.65:
	v_mov_b32_e32 v19, s29
	v_add_co_u32_e32 v48, vcc, s28, v36
	v_addc_co_u32_e32 v19, vcc, v19, v37, vcc
	v_lshlrev_b64 v[36:37], 3, v[14:15]
	v_add_co_u32_e32 v15, vcc, v48, v36
	v_addc_co_u32_e32 v19, vcc, v19, v37, vcc
	v_mov_b32_e32 v48, s27
	v_add_co_u32_e32 v56, vcc, s26, v15
	s_add_u32 s10, s24, s22
	v_addc_co_u32_e32 v57, vcc, v19, v48, vcc
	s_addc_u32 s11, s25, s23
	v_mov_b32_e32 v15, s11
	v_add_co_u32_e32 v19, vcc, s10, v34
	v_addc_co_u32_e32 v15, vcc, v15, v35, vcc
	v_add_co_u32_e32 v58, vcc, v19, v36
	v_addc_co_u32_e32 v59, vcc, v15, v37, vcc
	s_mov_b64 s[10:11], 0
                                        ; implicit-def: $vgpr36_vgpr37
                                        ; implicit-def: $vgpr34_vgpr35
.LBB47_66:
	s_or_saveexec_b64 s[8:9], s[8:9]
	v_pk_mov_b32 v[52:53], s[10:11], s[10:11] op_sel:[0,1]
	v_pk_mov_b32 v[60:61], s[10:11], s[10:11] op_sel:[0,1]
	s_xor_b64 exec, exec, s[8:9]
	s_cbranch_execz .LBB47_70
; %bb.67:
	v_mov_b32_e32 v19, s29
	v_add_co_u32_e32 v36, vcc, s28, v36
	v_addc_co_u32_e32 v19, vcc, v19, v37, vcc
	v_lshlrev_b64 v[48:49], 3, v[14:15]
	v_add_co_u32_e32 v15, vcc, v36, v48
	v_addc_co_u32_e32 v19, vcc, v19, v49, vcc
	v_mov_b32_e32 v36, s27
	v_add_co_u32_e32 v56, vcc, s26, v15
	v_addc_co_u32_e32 v57, vcc, v19, v36, vcc
	v_mov_b32_e32 v15, s15
	v_add_co_u32_e32 v36, vcc, s14, v56
	s_add_u32 s10, s24, s22
	v_addc_co_u32_e32 v37, vcc, v15, v57, vcc
	s_addc_u32 s11, s25, s23
	v_mov_b32_e32 v15, s11
	v_add_co_u32_e32 v19, vcc, s10, v34
	v_addc_co_u32_e32 v15, vcc, v15, v35, vcc
	v_add_co_u32_e32 v58, vcc, v19, v48
	v_addc_co_u32_e32 v59, vcc, v15, v49, vcc
	v_mov_b32_e32 v15, s13
	v_add_co_u32_e32 v34, vcc, s12, v58
	v_pk_mov_b32 v[52:53], 0, 0
	v_addc_co_u32_e32 v35, vcc, v15, v59, vcc
	s_mov_b64 s[10:11], 0
	v_mov_b32_e32 v15, v14
	v_pk_mov_b32 v[60:61], v[52:53], v[52:53] op_sel:[0,1]
.LBB47_68:                              ; =>This Inner Loop Header: Depth=1
	global_load_dwordx2 v[48:49], v[36:37], off
	v_add_u32_e32 v15, -1, v15
	v_cmp_le_i32_e32 vcc, v15, v18
	s_or_b64 s[10:11], vcc, s[10:11]
	s_waitcnt vmcnt(0)
	v_add_f64 v[48:49], v[48:49], -v[46:47]
	global_store_dwordx2 v[36:37], v[48:49], off
	global_load_dwordx2 v[54:55], v[34:35], off
	v_add_co_u32_e32 v36, vcc, -8, v36
	v_addc_co_u32_e32 v37, vcc, -1, v37, vcc
	v_add_co_u32_e32 v34, vcc, -8, v34
	v_addc_co_u32_e32 v35, vcc, -1, v35, vcc
	s_waitcnt vmcnt(0)
	v_div_scale_f64 v[62:63], s[22:23], v[48:49], v[48:49], v[54:55]
	v_rcp_f64_e32 v[64:65], v[62:63]
	v_div_scale_f64 v[66:67], vcc, v[54:55], v[48:49], v[54:55]
	v_fma_f64 v[68:69], -v[62:63], v[64:65], 1.0
	v_fmac_f64_e32 v[64:65], v[64:65], v[68:69]
	v_fma_f64 v[68:69], -v[62:63], v[64:65], 1.0
	v_fmac_f64_e32 v[64:65], v[64:65], v[68:69]
	v_mul_f64 v[68:69], v[66:67], v[64:65]
	v_fma_f64 v[62:63], -v[62:63], v[68:69], v[66:67]
	v_div_fmas_f64 v[62:63], v[62:63], v[64:65], v[68:69]
	v_div_fixup_f64 v[48:49], v[62:63], v[48:49], v[54:55]
	v_fmac_f64_e32 v[60:61], v[54:55], v[48:49]
	v_fmac_f64_e32 v[52:53], v[48:49], v[48:49]
	v_add_f64 v[0:1], v[0:1], v[60:61]
	s_andn2_b64 exec, exec, s[10:11]
	s_cbranch_execnz .LBB47_68
; %bb.69:
	s_or_b64 exec, exec, s[10:11]
.LBB47_70:
	s_or_b64 exec, exec, s[8:9]
	global_load_dwordx2 v[62:63], v[30:31], off
	global_load_dwordx2 v[48:49], v[28:29], off
	s_mov_b32 s22, 0
	v_add_f64 v[34:35], v[42:43], v[46:47]
	v_add_f64 v[36:37], v[24:25], v[2:3]
	v_add_f64 v[2:3], v[60:61], -v[2:3]
	v_pk_mov_b32 v[64:65], v[32:33], v[32:33] op_sel:[0,1]
	v_and_b32_e32 v43, 0x7fffffff, v51
	v_mov_b32_e32 v42, v50
	s_mov_b32 s23, 0x40240000
	v_fmac_f64_e32 v[64:65], 0x40200000, v[2:3]
	v_div_scale_f64 v[2:3], s[8:9], s[22:23], s[22:23], v[42:43]
	v_rcp_f64_e32 v[66:67], v[2:3]
	v_mov_b32_e32 v15, s15
	v_add_f64 v[46:47], v[36:37], v[60:61]
	v_add_co_u32_e32 v36, vcc, s14, v56
	v_addc_co_u32_e32 v37, vcc, v15, v57, vcc
	v_fma_f64 v[56:57], -v[2:3], v[66:67], 1.0
	v_fmac_f64_e32 v[66:67], v[66:67], v[56:57]
	v_fma_f64 v[56:57], -v[2:3], v[66:67], 1.0
	v_mov_b32_e32 v19, s13
	v_div_scale_f64 v[60:61], s[8:9], v[42:43], s[22:23], v[42:43]
	v_add_co_u32_e32 v42, vcc, s12, v58
	v_fmac_f64_e32 v[66:67], v[66:67], v[56:57]
	v_addc_co_u32_e32 v43, vcc, v19, v59, vcc
	v_mul_f64 v[58:59], v[60:61], v[66:67]
	v_fma_f64 v[2:3], -v[2:3], v[58:59], v[60:61]
	s_mov_b32 s10, 0
	v_add_f64 v[54:55], v[44:45], v[52:53]
	s_mov_b32 s11, 0x40080000
	s_mov_b32 s26, 0
	;; [unrolled: 1-line block ×3, first 2 shown]
	s_mov_b64 s[24:25], 0
	s_brev_b32 s27, 8
                                        ; implicit-def: $sgpr14_sgpr15
	s_waitcnt vmcnt(0)
	v_div_scale_f64 v[56:57], s[12:13], v[48:49], v[48:49], v[62:63]
	v_rcp_f64_e32 v[68:69], v[56:57]
	v_div_scale_f64 v[60:61], vcc, v[62:63], v[48:49], v[62:63]
                                        ; implicit-def: $sgpr12_sgpr13
	v_fma_f64 v[70:71], -v[56:57], v[68:69], 1.0
	v_fmac_f64_e32 v[68:69], v[68:69], v[70:71]
	v_fma_f64 v[70:71], -v[56:57], v[68:69], 1.0
	v_fmac_f64_e32 v[68:69], v[68:69], v[70:71]
	v_mul_f64 v[70:71], v[60:61], v[68:69]
	v_fma_f64 v[56:57], -v[56:57], v[70:71], v[60:61]
	v_div_fmas_f64 v[56:57], v[56:57], v[68:69], v[70:71]
	v_div_fixup_f64 v[56:57], v[56:57], v[48:49], v[62:63]
	s_mov_b64 vcc, s[8:9]
	v_div_fmas_f64 v[2:3], v[2:3], v[66:67], v[58:59]
	v_mul_f64 v[58:59], v[62:63], v[56:57]
	v_fmac_f64_e32 v[46:47], v[62:63], v[56:57]
	v_fmac_f64_e32 v[54:55], v[56:57], v[56:57]
	v_div_fixup_f64 v[2:3], v[2:3], s[22:23], |v[50:51]|
	v_fma_f64 v[50:51], |v[58:59]|, s[10:11], v[64:65]
	v_xor_b32_e32 v15, 0x80000000, v47
	v_cndmask_b32_e64 v58, v46, v46, s[0:1]
	v_fma_f64 v[50:51], |v[34:35]|, v[54:55], v[50:51]
	v_cndmask_b32_e64 v59, v47, v15, s[0:1]
	v_add_f64 v[0:1], v[0:1], v[50:51]
	v_cmp_gt_f64_e64 s[28:29], v[58:59], v[2:3]
	s_branch .LBB47_73
.LBB47_71:                              ;   in Loop: Header=BB47_73 Depth=1
	s_or_b64 exec, exec, s[8:9]
	global_load_dwordx2 v[58:59], v[30:31], off
	global_load_dwordx2 v[48:49], v[28:29], off
	v_add_f64 v[34:35], v[34:35], v[50:51]
	v_add_f64 v[50:51], v[24:25], v[2:3]
	v_and_b32_e32 v63, 0x7fffffff, v47
	v_mov_b32_e32 v62, v46
	v_add_f64 v[2:3], v[56:57], -v[2:3]
	v_add_f64 v[50:51], v[50:51], v[56:57]
	v_div_scale_f64 v[56:57], s[8:9], s[22:23], s[22:23], v[62:63]
	v_rcp_f64_e32 v[64:65], v[56:57]
	v_pk_mov_b32 v[60:61], v[32:33], v[32:33] op_sel:[0,1]
	v_fmac_f64_e32 v[60:61], 0x40200000, v[2:3]
	v_div_scale_f64 v[2:3], s[8:9], v[62:63], s[22:23], v[62:63]
	v_fma_f64 v[62:63], -v[56:57], v[64:65], 1.0
	v_fmac_f64_e32 v[64:65], v[64:65], v[62:63]
	v_fma_f64 v[62:63], -v[56:57], v[64:65], 1.0
	v_fmac_f64_e32 v[64:65], v[64:65], v[62:63]
	v_mul_f64 v[62:63], v[2:3], v[64:65]
	v_fma_f64 v[2:3], -v[56:57], v[62:63], v[2:3]
	s_add_i32 s41, s41, 1
	v_add_f64 v[54:55], v[44:45], v[52:53]
	s_waitcnt vmcnt(0)
	v_div_scale_f64 v[66:67], s[34:35], v[48:49], v[48:49], v[58:59]
	v_rcp_f64_e32 v[68:69], v[66:67]
	v_div_scale_f64 v[56:57], vcc, v[58:59], v[48:49], v[58:59]
	v_fma_f64 v[70:71], -v[66:67], v[68:69], 1.0
	v_fmac_f64_e32 v[68:69], v[68:69], v[70:71]
	v_fma_f64 v[70:71], -v[66:67], v[68:69], 1.0
	v_fmac_f64_e32 v[68:69], v[68:69], v[70:71]
	v_mul_f64 v[70:71], v[56:57], v[68:69]
	v_fma_f64 v[56:57], -v[66:67], v[70:71], v[56:57]
	v_div_fmas_f64 v[56:57], v[56:57], v[68:69], v[70:71]
	v_div_fixup_f64 v[56:57], v[56:57], v[48:49], v[58:59]
	s_mov_b64 vcc, s[8:9]
	v_div_fmas_f64 v[2:3], v[2:3], v[64:65], v[62:63]
	v_fmac_f64_e32 v[50:51], v[58:59], v[56:57]
	v_div_fixup_f64 v[2:3], v[2:3], s[22:23], |v[46:47]|
	v_mul_f64 v[46:47], v[46:47], v[50:51]
	v_cmp_gt_f64_e64 s[8:9], |v[50:51]|, v[2:3]
	v_cmp_lt_f64_e32 vcc, 0, v[46:47]
	s_and_b64 s[8:9], vcc, s[8:9]
	s_xor_b64 s[8:9], s[28:29], s[8:9]
	v_mul_f64 v[62:63], v[58:59], v[56:57]
	s_cmp_eq_u32 s41, 50
	v_fmac_f64_e32 v[54:55], v[56:57], v[56:57]
	v_fma_f64 v[58:59], |v[62:63]|, s[10:11], v[60:61]
	s_cselect_b64 s[34:35], -1, 0
	s_andn2_b64 s[14:15], s[14:15], exec
	s_and_b64 s[8:9], s[8:9], exec
	v_fma_f64 v[2:3], |v[34:35]|, v[54:55], v[58:59]
	s_andn2_b64 s[12:13], s[12:13], exec
	s_or_b64 s[14:15], s[14:15], s[8:9]
	s_and_b64 s[8:9], s[34:35], exec
	v_add_f64 v[0:1], v[0:1], v[2:3]
	s_or_b64 s[12:13], s[12:13], s[8:9]
	v_pk_mov_b32 v[46:47], v[50:51], v[50:51] op_sel:[0,1]
                                        ; implicit-def: $sgpr28_sgpr29
.LBB47_72:                              ;   in Loop: Header=BB47_73 Depth=1
	s_or_b64 exec, exec, s[30:31]
	s_and_b64 s[8:9], exec, s[12:13]
	s_or_b64 s[24:25], s[8:9], s[24:25]
	s_andn2_b64 s[8:9], s[28:29], exec
	s_and_b64 s[28:29], s[14:15], exec
	s_or_b64 s[28:29], s[8:9], s[28:29]
	s_andn2_b64 exec, exec, s[24:25]
	s_cbranch_execz .LBB47_116
.LBB47_73:                              ; =>This Loop Header: Depth=1
                                        ;     Child Loop BB47_110 Depth 2
                                        ;     Child Loop BB47_114 Depth 2
	v_mul_f64 v[0:1], v[0:1], s[18:19]
	v_cmp_nle_f64_e64 s[8:9], |v[46:47]|, v[0:1]
	s_andn2_b64 s[14:15], s[14:15], exec
	s_or_b64 s[12:13], s[12:13], exec
                                        ; implicit-def: $vgpr0_vgpr1
	s_and_saveexec_b64 s[30:31], s[8:9]
	s_cbranch_execz .LBB47_72
; %bb.74:                               ;   in Loop: Header=BB47_73 Depth=1
	global_load_dwordx4 v[0:3], v[10:11], off
	s_xor_b64 s[8:9], s[28:29], -1
                                        ; implicit-def: $vgpr60_vgpr61
	s_and_saveexec_b64 s[34:35], s[8:9]
	s_xor_b64 s[34:35], exec, s[34:35]
	s_cbranch_execz .LBB47_76
; %bb.75:                               ;   in Loop: Header=BB47_73 Depth=1
	v_fma_f64 v[50:51], v[56:57], v[56:57], v[44:45]
	v_fma_f64 v[56:57], v[56:57], v[56:57], v[52:53]
	v_cndmask_b32_e64 v45, v45, v51, s[0:1]
	v_cndmask_b32_e64 v44, v44, v50, s[0:1]
	;; [unrolled: 1-line block ×4, first 2 shown]
	s_waitcnt vmcnt(0)
	v_fma_f64 v[50:51], -v[44:45], v[0:1], v[46:47]
	v_fma_f64 v[60:61], -v[52:53], v[2:3], v[50:51]
.LBB47_76:                              ;   in Loop: Header=BB47_73 Depth=1
	s_andn2_saveexec_b64 s[34:35], s[34:35]
	s_cbranch_execz .LBB47_82
; %bb.77:                               ;   in Loop: Header=BB47_73 Depth=1
                                        ; implicit-def: $vgpr60_vgpr61
	s_and_saveexec_b64 s[36:37], s[2:3]
	s_xor_b64 s[36:37], exec, s[36:37]
	s_cbranch_execz .LBB47_79
; %bb.78:                               ;   in Loop: Header=BB47_73 Depth=1
	global_load_dwordx2 v[50:51], v[20:21], off offset:8
	s_waitcnt vmcnt(0)
	v_mul_f64 v[56:57], v[22:23], v[50:51]
	v_mul_f64 v[50:51], v[50:51], v[56:57]
	v_div_scale_f64 v[56:57], s[38:39], v[2:3], v[2:3], v[50:51]
	v_rcp_f64_e32 v[58:59], v[56:57]
	v_div_scale_f64 v[60:61], vcc, v[50:51], v[2:3], v[50:51]
	v_fma_f64 v[62:63], -v[56:57], v[58:59], 1.0
	v_fmac_f64_e32 v[58:59], v[58:59], v[62:63]
	v_fma_f64 v[62:63], -v[56:57], v[58:59], 1.0
	v_fmac_f64_e32 v[58:59], v[58:59], v[62:63]
	v_mul_f64 v[62:63], v[60:61], v[58:59]
	v_fma_f64 v[56:57], -v[56:57], v[62:63], v[60:61]
	v_div_fmas_f64 v[56:57], v[56:57], v[58:59], v[62:63]
	v_div_fixup_f64 v[50:51], v[56:57], v[2:3], v[50:51]
	v_div_scale_f64 v[56:57], s[38:39], v[2:3], v[2:3], v[50:51]
	v_rcp_f64_e32 v[58:59], v[56:57]
	v_div_scale_f64 v[62:63], vcc, v[50:51], v[2:3], v[50:51]
	v_fma_f64 v[60:61], -v[54:55], v[0:1], v[46:47]
	v_fma_f64 v[64:65], -v[56:57], v[58:59], 1.0
	v_fmac_f64_e32 v[58:59], v[58:59], v[64:65]
	v_fma_f64 v[64:65], -v[56:57], v[58:59], 1.0
	v_fmac_f64_e32 v[58:59], v[58:59], v[64:65]
	v_mul_f64 v[64:65], v[62:63], v[58:59]
	v_fma_f64 v[56:57], -v[56:57], v[64:65], v[62:63]
	v_div_fmas_f64 v[56:57], v[56:57], v[58:59], v[64:65]
	v_div_fixup_f64 v[50:51], v[56:57], v[2:3], v[50:51]
	v_add_f64 v[60:61], v[60:61], -v[50:51]
.LBB47_79:                              ;   in Loop: Header=BB47_73 Depth=1
	s_andn2_saveexec_b64 s[36:37], s[36:37]
	s_cbranch_execz .LBB47_81
; %bb.80:                               ;   in Loop: Header=BB47_73 Depth=1
	global_load_dwordx2 v[50:51], v[20:21], off
	s_waitcnt vmcnt(0)
	v_mul_f64 v[56:57], v[16:17], v[50:51]
	v_mul_f64 v[50:51], v[50:51], v[56:57]
	v_div_scale_f64 v[56:57], s[38:39], v[0:1], v[0:1], v[50:51]
	v_rcp_f64_e32 v[58:59], v[56:57]
	v_div_scale_f64 v[60:61], vcc, v[50:51], v[0:1], v[50:51]
	v_fma_f64 v[62:63], -v[56:57], v[58:59], 1.0
	v_fmac_f64_e32 v[58:59], v[58:59], v[62:63]
	v_fma_f64 v[62:63], -v[56:57], v[58:59], 1.0
	v_fmac_f64_e32 v[58:59], v[58:59], v[62:63]
	v_mul_f64 v[62:63], v[60:61], v[58:59]
	v_fma_f64 v[56:57], -v[56:57], v[62:63], v[60:61]
	v_div_fmas_f64 v[56:57], v[56:57], v[58:59], v[62:63]
	v_div_fixup_f64 v[50:51], v[56:57], v[0:1], v[50:51]
	v_div_scale_f64 v[56:57], s[38:39], v[0:1], v[0:1], v[50:51]
	v_rcp_f64_e32 v[58:59], v[56:57]
	v_div_scale_f64 v[62:63], vcc, v[50:51], v[0:1], v[50:51]
	v_fma_f64 v[60:61], -v[54:55], v[2:3], v[46:47]
	v_fma_f64 v[64:65], -v[56:57], v[58:59], 1.0
	v_fmac_f64_e32 v[58:59], v[58:59], v[64:65]
	v_fma_f64 v[64:65], -v[56:57], v[58:59], 1.0
	v_fmac_f64_e32 v[58:59], v[58:59], v[64:65]
	v_mul_f64 v[64:65], v[62:63], v[58:59]
	v_fma_f64 v[56:57], -v[56:57], v[64:65], v[62:63]
	v_div_fmas_f64 v[56:57], v[56:57], v[58:59], v[64:65]
	v_div_fixup_f64 v[50:51], v[56:57], v[0:1], v[50:51]
	v_add_f64 v[60:61], v[60:61], -v[50:51]
.LBB47_81:                              ;   in Loop: Header=BB47_73 Depth=1
	s_or_b64 exec, exec, s[36:37]
.LBB47_82:                              ;   in Loop: Header=BB47_73 Depth=1
	s_or_b64 exec, exec, s[34:35]
	s_waitcnt vmcnt(0)
	v_mul_f64 v[56:57], v[0:1], v[2:3]
	v_add_f64 v[50:51], v[0:1], v[2:3]
	v_mul_f64 v[58:59], v[54:55], v[56:57]
	v_fma_f64 v[58:59], v[46:47], v[50:51], -v[58:59]
	v_mul_f64 v[56:57], v[46:47], v[56:57]
	v_cmp_neq_f64_e32 vcc, 0, v[60:61]
                                        ; implicit-def: $vgpr50_vgpr51
	s_and_saveexec_b64 s[34:35], vcc
	s_xor_b64 s[34:35], exec, s[34:35]
	s_cbranch_execz .LBB47_88
; %bb.83:                               ;   in Loop: Header=BB47_73 Depth=1
	v_mul_f64 v[0:1], v[56:57], -4.0
	v_mul_f64 v[0:1], v[0:1], v[60:61]
	v_fmac_f64_e32 v[0:1], v[58:59], v[58:59]
	v_cmp_lt_f64_e64 vcc, |v[0:1]|, s[26:27]
	v_cndmask_b32_e64 v2, 0, 1, vcc
	v_lshlrev_b32_e32 v2, 8, v2
	v_ldexp_f64 v[0:1], |v[0:1]|, v2
	v_rsq_f64_e32 v[2:3], v[0:1]
	v_mov_b32_e32 v15, 0x260
	v_mul_f64 v[44:45], v[0:1], v[2:3]
	v_mul_f64 v[2:3], v[2:3], 0.5
	v_fma_f64 v[50:51], -v[2:3], v[44:45], 0.5
	v_fmac_f64_e32 v[44:45], v[44:45], v[50:51]
	v_fmac_f64_e32 v[2:3], v[2:3], v[50:51]
	v_fma_f64 v[50:51], -v[44:45], v[44:45], v[0:1]
	v_fmac_f64_e32 v[44:45], v[50:51], v[2:3]
	v_fma_f64 v[50:51], -v[44:45], v[44:45], v[0:1]
	v_fmac_f64_e32 v[44:45], v[50:51], v[2:3]
	v_mov_b32_e32 v2, 0xffffff80
	v_cndmask_b32_e32 v2, 0, v2, vcc
	v_ldexp_f64 v[2:3], v[44:45], v2
	v_cmp_class_f64_e32 vcc, v[0:1], v15
	v_cndmask_b32_e32 v1, v3, v1, vcc
	v_cndmask_b32_e32 v0, v2, v0, vcc
	v_cmp_ge_f64_e32 vcc, 0, v[58:59]
                                        ; implicit-def: $vgpr50_vgpr51
	s_and_saveexec_b64 s[36:37], vcc
	s_xor_b64 s[36:37], exec, s[36:37]
	s_cbranch_execz .LBB47_85
; %bb.84:                               ;   in Loop: Header=BB47_73 Depth=1
	v_add_f64 v[0:1], v[58:59], -v[0:1]
	v_add_f64 v[2:3], v[60:61], v[60:61]
	v_div_scale_f64 v[44:45], s[38:39], v[2:3], v[2:3], v[0:1]
	v_rcp_f64_e32 v[50:51], v[44:45]
                                        ; implicit-def: $vgpr58_vgpr59
	v_fma_f64 v[52:53], -v[44:45], v[50:51], 1.0
	v_fmac_f64_e32 v[50:51], v[50:51], v[52:53]
	v_fma_f64 v[52:53], -v[44:45], v[50:51], 1.0
	v_fmac_f64_e32 v[50:51], v[50:51], v[52:53]
	v_div_scale_f64 v[52:53], vcc, v[0:1], v[2:3], v[0:1]
	v_mul_f64 v[56:57], v[52:53], v[50:51]
	v_fma_f64 v[44:45], -v[44:45], v[56:57], v[52:53]
	s_nop 1
	v_div_fmas_f64 v[44:45], v[44:45], v[50:51], v[56:57]
	v_div_fixup_f64 v[50:51], v[44:45], v[2:3], v[0:1]
                                        ; implicit-def: $vgpr56_vgpr57
                                        ; implicit-def: $vgpr0_vgpr1
.LBB47_85:                              ;   in Loop: Header=BB47_73 Depth=1
	s_andn2_saveexec_b64 s[36:37], s[36:37]
	s_cbranch_execz .LBB47_87
; %bb.86:                               ;   in Loop: Header=BB47_73 Depth=1
	v_add_f64 v[2:3], v[56:57], v[56:57]
	v_add_f64 v[0:1], v[58:59], v[0:1]
	v_div_scale_f64 v[44:45], s[38:39], v[0:1], v[0:1], v[2:3]
	v_rcp_f64_e32 v[50:51], v[44:45]
	v_fma_f64 v[52:53], -v[44:45], v[50:51], 1.0
	v_fmac_f64_e32 v[50:51], v[50:51], v[52:53]
	v_fma_f64 v[52:53], -v[44:45], v[50:51], 1.0
	v_fmac_f64_e32 v[50:51], v[50:51], v[52:53]
	v_div_scale_f64 v[52:53], vcc, v[2:3], v[0:1], v[2:3]
	v_mul_f64 v[56:57], v[52:53], v[50:51]
	v_fma_f64 v[44:45], -v[44:45], v[56:57], v[52:53]
	s_nop 1
	v_div_fmas_f64 v[44:45], v[44:45], v[50:51], v[56:57]
	v_div_fixup_f64 v[50:51], v[44:45], v[0:1], v[2:3]
.LBB47_87:                              ;   in Loop: Header=BB47_73 Depth=1
	s_or_b64 exec, exec, s[36:37]
                                        ; implicit-def: $vgpr58_vgpr59
                                        ; implicit-def: $vgpr56_vgpr57
                                        ; implicit-def: $vgpr0_vgpr1
                                        ; implicit-def: $vgpr52_vgpr53
                                        ; implicit-def: $vgpr44_vgpr45
.LBB47_88:                              ;   in Loop: Header=BB47_73 Depth=1
	s_andn2_saveexec_b64 s[34:35], s[34:35]
	s_cbranch_execz .LBB47_100
; %bb.89:                               ;   in Loop: Header=BB47_73 Depth=1
	v_cmp_eq_f64_e32 vcc, 0, v[58:59]
	s_and_saveexec_b64 s[36:37], vcc
	s_cbranch_execz .LBB47_99
; %bb.90:                               ;   in Loop: Header=BB47_73 Depth=1
                                        ; implicit-def: $vgpr58_vgpr59
	s_and_saveexec_b64 s[38:39], s[8:9]
	s_xor_b64 s[8:9], exec, s[38:39]
; %bb.91:                               ;   in Loop: Header=BB47_73 Depth=1
	v_mul_f64 v[2:3], v[2:3], v[2:3]
	v_mul_f64 v[0:1], v[0:1], v[0:1]
	;; [unrolled: 1-line block ×3, first 2 shown]
	v_fmac_f64_e32 v[58:59], v[0:1], v[44:45]
                                        ; implicit-def: $vgpr2_vgpr3
                                        ; implicit-def: $vgpr44_vgpr45
                                        ; implicit-def: $vgpr52_vgpr53
; %bb.92:                               ;   in Loop: Header=BB47_73 Depth=1
	s_andn2_saveexec_b64 s[8:9], s[8:9]
	s_cbranch_execz .LBB47_98
; %bb.93:                               ;   in Loop: Header=BB47_73 Depth=1
	v_add_f64 v[44:45], v[44:45], v[52:53]
                                        ; implicit-def: $vgpr58_vgpr59
	s_and_saveexec_b64 s[38:39], s[2:3]
	s_xor_b64 s[38:39], exec, s[38:39]
	s_cbranch_execz .LBB47_95
; %bb.94:                               ;   in Loop: Header=BB47_73 Depth=1
	global_load_dwordx2 v[2:3], v[20:21], off offset:8
	v_mul_f64 v[0:1], v[0:1], v[0:1]
	s_waitcnt vmcnt(0)
	v_mul_f64 v[58:59], v[2:3], v[2:3]
	v_fmac_f64_e32 v[58:59], v[0:1], v[44:45]
                                        ; implicit-def: $vgpr2_vgpr3
                                        ; implicit-def: $vgpr44_vgpr45
.LBB47_95:                              ;   in Loop: Header=BB47_73 Depth=1
	s_andn2_saveexec_b64 s[38:39], s[38:39]
	s_cbranch_execz .LBB47_97
; %bb.96:                               ;   in Loop: Header=BB47_73 Depth=1
	global_load_dwordx2 v[0:1], v[20:21], off
	s_waitcnt vmcnt(0)
	v_mul_f64 v[58:59], v[0:1], v[0:1]
	v_mul_f64 v[0:1], v[2:3], v[2:3]
	v_fmac_f64_e32 v[58:59], v[0:1], v[44:45]
.LBB47_97:                              ;   in Loop: Header=BB47_73 Depth=1
	s_or_b64 exec, exec, s[38:39]
.LBB47_98:                              ;   in Loop: Header=BB47_73 Depth=1
	s_or_b64 exec, exec, s[8:9]
.LBB47_99:                              ;   in Loop: Header=BB47_73 Depth=1
	s_or_b64 exec, exec, s[36:37]
	v_div_scale_f64 v[0:1], s[8:9], v[58:59], v[58:59], v[56:57]
	v_rcp_f64_e32 v[2:3], v[0:1]
	v_div_scale_f64 v[44:45], vcc, v[56:57], v[58:59], v[56:57]
	v_fma_f64 v[50:51], -v[0:1], v[2:3], 1.0
	v_fmac_f64_e32 v[2:3], v[2:3], v[50:51]
	v_fma_f64 v[50:51], -v[0:1], v[2:3], 1.0
	v_fmac_f64_e32 v[2:3], v[2:3], v[50:51]
	v_mul_f64 v[50:51], v[44:45], v[2:3]
	v_fma_f64 v[0:1], -v[0:1], v[50:51], v[44:45]
	v_div_fmas_f64 v[0:1], v[0:1], v[2:3], v[50:51]
	v_div_fixup_f64 v[50:51], v[0:1], v[58:59], v[56:57]
.LBB47_100:                             ;   in Loop: Header=BB47_73 Depth=1
	s_or_b64 exec, exec, s[34:35]
	v_mul_f64 v[0:1], v[46:47], v[50:51]
	v_cmp_le_f64_e32 vcc, 0, v[0:1]
	s_and_saveexec_b64 s[8:9], vcc
; %bb.101:                              ;   in Loop: Header=BB47_73 Depth=1
	v_div_scale_f64 v[0:1], s[34:35], v[54:55], v[54:55], -v[46:47]
	v_rcp_f64_e32 v[2:3], v[0:1]
	v_div_scale_f64 v[44:45], vcc, -v[46:47], v[54:55], -v[46:47]
	v_fma_f64 v[50:51], -v[0:1], v[2:3], 1.0
	v_fmac_f64_e32 v[2:3], v[2:3], v[50:51]
	v_fma_f64 v[50:51], -v[0:1], v[2:3], 1.0
	v_fmac_f64_e32 v[2:3], v[2:3], v[50:51]
	v_mul_f64 v[50:51], v[44:45], v[2:3]
	v_fma_f64 v[0:1], -v[0:1], v[50:51], v[44:45]
	v_div_fmas_f64 v[0:1], v[0:1], v[2:3], v[50:51]
	v_div_fixup_f64 v[50:51], v[0:1], v[54:55], -v[46:47]
; %bb.102:                              ;   in Loop: Header=BB47_73 Depth=1
	s_or_b64 exec, exec, s[8:9]
	v_cmp_lt_f64_e32 vcc, v[38:39], v[34:35]
	v_cndmask_b32_e32 v0, v38, v34, vcc
	v_cndmask_b32_e32 v1, v39, v35, vcc
	v_cmp_nge_f64_e32 vcc, 0, v[46:47]
	v_cndmask_b32_e32 v39, v1, v39, vcc
	v_cndmask_b32_e32 v38, v0, v38, vcc
	v_cmp_lt_f64_e32 vcc, 0, v[46:47]
	v_cmp_lt_f64_e64 s[8:9], v[34:35], v[40:41]
	s_and_b64 vcc, vcc, s[8:9]
	v_cndmask_b32_e32 v41, v41, v35, vcc
	v_cndmask_b32_e32 v40, v40, v34, vcc
	v_add_f64 v[0:1], v[34:35], v[50:51]
	v_cmp_gt_f64_e32 vcc, v[0:1], v[40:41]
	v_cmp_lt_f64_e64 s[8:9], v[0:1], v[38:39]
	s_or_b64 s[34:35], vcc, s[8:9]
	s_and_saveexec_b64 s[8:9], s[34:35]
	s_cbranch_execz .LBB47_108
; %bb.103:                              ;   in Loop: Header=BB47_73 Depth=1
	v_cmp_ngt_f64_e32 vcc, 0, v[46:47]
                                        ; implicit-def: $vgpr50_vgpr51
	s_and_saveexec_b64 s[34:35], vcc
	s_xor_b64 s[34:35], exec, s[34:35]
; %bb.104:                              ;   in Loop: Header=BB47_73 Depth=1
	v_add_f64 v[0:1], v[38:39], -v[34:35]
	v_mul_f64 v[50:51], v[0:1], 0.5
; %bb.105:                              ;   in Loop: Header=BB47_73 Depth=1
	s_andn2_saveexec_b64 s[34:35], s[34:35]
; %bb.106:                              ;   in Loop: Header=BB47_73 Depth=1
	v_add_f64 v[0:1], v[40:41], -v[34:35]
	v_mul_f64 v[50:51], v[0:1], 0.5
; %bb.107:                              ;   in Loop: Header=BB47_73 Depth=1
	s_or_b64 exec, exec, s[34:35]
.LBB47_108:                             ;   in Loop: Header=BB47_73 Depth=1
	s_or_b64 exec, exec, s[8:9]
	v_add_f64 v[0:1], v[48:49], -v[50:51]
	v_pk_mov_b32 v[44:45], 0, 0
	global_store_dwordx2 v[28:29], v[0:1], off
	v_pk_mov_b32 v[0:1], v[44:45], v[44:45] op_sel:[0,1]
	v_pk_mov_b32 v[2:3], v[44:45], v[44:45] op_sel:[0,1]
	s_and_saveexec_b64 s[8:9], s[6:7]
	s_cbranch_execz .LBB47_112
; %bb.109:                              ;   in Loop: Header=BB47_73 Depth=1
	v_pk_mov_b32 v[44:45], 0, 0
	s_mov_b64 s[34:35], 0
	v_pk_mov_b32 v[48:49], v[12:13], v[12:13] op_sel:[0,1]
	v_pk_mov_b32 v[52:53], v[8:9], v[8:9] op_sel:[0,1]
	v_mov_b32_e32 v15, v18
	v_pk_mov_b32 v[0:1], v[44:45], v[44:45] op_sel:[0,1]
	v_pk_mov_b32 v[2:3], v[44:45], v[44:45] op_sel:[0,1]
.LBB47_110:                             ;   Parent Loop BB47_73 Depth=1
                                        ; =>  This Inner Loop Header: Depth=2
	global_load_dwordx2 v[54:55], v[52:53], off
	v_add_u32_e32 v15, -1, v15
	v_cmp_eq_u32_e32 vcc, 0, v15
	s_or_b64 s[34:35], vcc, s[34:35]
	s_waitcnt vmcnt(0)
	v_add_f64 v[54:55], v[54:55], -v[50:51]
	global_store_dwordx2 v[52:53], v[54:55], off
	global_load_dwordx2 v[56:57], v[48:49], off
	v_add_co_u32_e32 v52, vcc, 8, v52
	v_addc_co_u32_e32 v53, vcc, 0, v53, vcc
	v_add_co_u32_e32 v48, vcc, 8, v48
	v_addc_co_u32_e32 v49, vcc, 0, v49, vcc
	s_waitcnt vmcnt(0)
	v_div_scale_f64 v[58:59], s[36:37], v[54:55], v[54:55], v[56:57]
	v_rcp_f64_e32 v[60:61], v[58:59]
	v_div_scale_f64 v[62:63], vcc, v[56:57], v[54:55], v[56:57]
	v_fma_f64 v[64:65], -v[58:59], v[60:61], 1.0
	v_fmac_f64_e32 v[60:61], v[60:61], v[64:65]
	v_fma_f64 v[64:65], -v[58:59], v[60:61], 1.0
	v_fmac_f64_e32 v[60:61], v[60:61], v[64:65]
	v_mul_f64 v[64:65], v[62:63], v[60:61]
	v_fma_f64 v[58:59], -v[58:59], v[64:65], v[62:63]
	v_div_fmas_f64 v[58:59], v[58:59], v[60:61], v[64:65]
	v_div_fixup_f64 v[54:55], v[58:59], v[54:55], v[56:57]
	v_fmac_f64_e32 v[2:3], v[56:57], v[54:55]
	v_fmac_f64_e32 v[44:45], v[54:55], v[54:55]
	v_add_f64 v[0:1], v[0:1], v[2:3]
	s_andn2_b64 exec, exec, s[34:35]
	s_cbranch_execnz .LBB47_110
; %bb.111:                              ;   in Loop: Header=BB47_73 Depth=1
	s_or_b64 exec, exec, s[34:35]
.LBB47_112:                             ;   in Loop: Header=BB47_73 Depth=1
	s_or_b64 exec, exec, s[8:9]
	v_pk_mov_b32 v[52:53], 0, 0
	v_and_b32_e32 v1, 0x7fffffff, v1
	v_pk_mov_b32 v[56:57], v[52:53], v[52:53] op_sel:[0,1]
	s_and_saveexec_b64 s[8:9], s[4:5]
	s_cbranch_execz .LBB47_71
; %bb.113:                              ;   in Loop: Header=BB47_73 Depth=1
	v_pk_mov_b32 v[52:53], 0, 0
	s_mov_b64 s[34:35], 0
	v_pk_mov_b32 v[48:49], v[42:43], v[42:43] op_sel:[0,1]
	v_pk_mov_b32 v[54:55], v[36:37], v[36:37] op_sel:[0,1]
	v_mov_b32_e32 v15, v14
	v_pk_mov_b32 v[56:57], v[52:53], v[52:53] op_sel:[0,1]
.LBB47_114:                             ;   Parent Loop BB47_73 Depth=1
                                        ; =>  This Inner Loop Header: Depth=2
	global_load_dwordx2 v[58:59], v[54:55], off
	v_add_u32_e32 v15, -1, v15
	v_cmp_le_i32_e32 vcc, v15, v18
	s_or_b64 s[34:35], vcc, s[34:35]
	s_waitcnt vmcnt(0)
	v_add_f64 v[58:59], v[58:59], -v[50:51]
	global_store_dwordx2 v[54:55], v[58:59], off
	global_load_dwordx2 v[60:61], v[48:49], off
	v_add_co_u32_e32 v54, vcc, -8, v54
	v_addc_co_u32_e32 v55, vcc, -1, v55, vcc
	v_add_co_u32_e32 v48, vcc, -8, v48
	v_addc_co_u32_e32 v49, vcc, -1, v49, vcc
	s_waitcnt vmcnt(0)
	v_div_scale_f64 v[62:63], s[36:37], v[58:59], v[58:59], v[60:61]
	v_rcp_f64_e32 v[64:65], v[62:63]
	v_div_scale_f64 v[66:67], vcc, v[60:61], v[58:59], v[60:61]
	v_fma_f64 v[68:69], -v[62:63], v[64:65], 1.0
	v_fmac_f64_e32 v[64:65], v[64:65], v[68:69]
	v_fma_f64 v[68:69], -v[62:63], v[64:65], 1.0
	v_fmac_f64_e32 v[64:65], v[64:65], v[68:69]
	v_mul_f64 v[68:69], v[66:67], v[64:65]
	v_fma_f64 v[62:63], -v[62:63], v[68:69], v[66:67]
	v_div_fmas_f64 v[62:63], v[62:63], v[64:65], v[68:69]
	v_div_fixup_f64 v[58:59], v[62:63], v[58:59], v[60:61]
	v_fmac_f64_e32 v[56:57], v[60:61], v[58:59]
	v_fmac_f64_e32 v[52:53], v[58:59], v[58:59]
	v_add_f64 v[0:1], v[0:1], v[56:57]
	s_andn2_b64 exec, exec, s[34:35]
	s_cbranch_execnz .LBB47_114
; %bb.115:                              ;   in Loop: Header=BB47_73 Depth=1
	s_or_b64 exec, exec, s[34:35]
	s_branch .LBB47_71
.LBB47_116:
	s_or_b64 exec, exec, s[24:25]
	v_add_f64 v[2:3], v[26:27], v[34:35]
.LBB47_117:
	s_or_b64 exec, exec, s[20:21]
                                        ; implicit-def: $vgpr24
                                        ; implicit-def: $vgpr0
                                        ; implicit-def: $vgpr8_vgpr9
                                        ; implicit-def: $vgpr12_vgpr13
                                        ; implicit-def: $vgpr10_vgpr11
                                        ; implicit-def: $vgpr16_vgpr17
                                        ; implicit-def: $vgpr20_vgpr21
.LBB47_118:
	s_andn2_saveexec_b64 s[4:5], s[16:17]
	s_cbranch_execz .LBB47_188
; %bb.119:
	v_ashrrev_i32_e32 v25, 31, v24
	v_lshlrev_b64 v[14:15], 3, v[24:25]
	v_add_co_u32_e32 v2, vcc, v8, v14
	v_addc_co_u32_e32 v3, vcc, v9, v15, vcc
	global_load_dwordx2 v[28:29], v[2:3], off offset:-16
	s_waitcnt vmcnt(1)
	v_fma_f64 v[18:19], |v[6:7]|, 0.5, v[16:17]
	v_cmp_lt_i32_e32 vcc, 2, v24
	v_pk_mov_b32 v[26:27], 0, 0
	s_and_saveexec_b64 s[0:1], vcc
	s_cbranch_execz .LBB47_123
; %bb.120:
	v_add_u32_e32 v1, -2, v24
	s_mov_b64 s[2:3], 0
	v_pk_mov_b32 v[26:27], 0, 0
	v_pk_mov_b32 v[22:23], v[12:13], v[12:13] op_sel:[0,1]
	v_pk_mov_b32 v[30:31], v[8:9], v[8:9] op_sel:[0,1]
.LBB47_121:                             ; =>This Inner Loop Header: Depth=1
	global_load_dwordx2 v[32:33], v[30:31], off
	global_load_dwordx2 v[34:35], v[22:23], off
	v_add_co_u32_e32 v30, vcc, 8, v30
	v_addc_co_u32_e32 v31, vcc, 0, v31, vcc
	v_add_co_u32_e32 v22, vcc, 8, v22
	v_add_u32_e32 v1, -1, v1
	v_addc_co_u32_e32 v23, vcc, 0, v23, vcc
	v_cmp_eq_u32_e32 vcc, 0, v1
	s_or_b64 s[2:3], vcc, s[2:3]
	s_waitcnt vmcnt(1)
	v_add_f64 v[32:33], v[32:33], -v[18:19]
	s_waitcnt vmcnt(0)
	v_div_scale_f64 v[36:37], s[6:7], v[32:33], v[32:33], v[34:35]
	v_rcp_f64_e32 v[38:39], v[36:37]
	v_div_scale_f64 v[40:41], vcc, v[34:35], v[32:33], v[34:35]
	v_fma_f64 v[42:43], -v[36:37], v[38:39], 1.0
	v_fmac_f64_e32 v[38:39], v[38:39], v[42:43]
	v_fma_f64 v[42:43], -v[36:37], v[38:39], 1.0
	v_fmac_f64_e32 v[38:39], v[38:39], v[42:43]
	v_mul_f64 v[42:43], v[40:41], v[38:39]
	v_fma_f64 v[36:37], -v[36:37], v[42:43], v[40:41]
	v_div_fmas_f64 v[36:37], v[36:37], v[38:39], v[42:43]
	v_div_fixup_f64 v[32:33], v[36:37], v[32:33], v[34:35]
	v_fmac_f64_e32 v[26:27], v[34:35], v[32:33]
	s_andn2_b64 exec, exec, s[2:3]
	s_cbranch_execnz .LBB47_121
; %bb.122:
	s_or_b64 exec, exec, s[2:3]
.LBB47_123:
	s_or_b64 exec, exec, s[0:1]
	v_add_co_u32_e32 v30, vcc, v12, v14
	v_addc_co_u32_e32 v31, vcc, v13, v15, vcc
	v_add_co_u32_e32 v14, vcc, v12, v20
	v_addc_co_u32_e32 v15, vcc, v13, v21, vcc
	global_load_dwordx2 v[32:33], v[30:31], off offset:-16
	global_load_dwordx2 v[34:35], v[14:15], off
	v_and_b32_e32 v21, 0x7fffffff, v7
	v_mov_b32_e32 v20, v6
	v_div_scale_f64 v[30:31], s[0:1], v[20:21], v[20:21], 1.0
	v_rcp_f64_e32 v[36:37], v[30:31]
	s_waitcnt vmcnt(2)
	v_add_f64 v[38:39], v[28:29], -v[18:19]
	v_div_scale_f64 v[18:19], vcc, 1.0, v[20:21], 1.0
	v_fma_f64 v[40:41], -v[30:31], v[36:37], 1.0
	v_fmac_f64_e32 v[36:37], v[36:37], v[40:41]
	v_fma_f64 v[40:41], -v[30:31], v[36:37], 1.0
	v_fmac_f64_e32 v[36:37], v[36:37], v[40:41]
	v_mul_f64 v[40:41], v[18:19], v[36:37]
	v_fma_f64 v[18:19], -v[30:31], v[40:41], v[18:19]
	v_div_fmas_f64 v[18:19], v[18:19], v[36:37], v[40:41]
	v_div_fixup_f64 v[18:19], v[18:19], |v[6:7]|, 1.0
	v_add_f64 v[26:27], v[18:19], v[26:27]
	v_mul_f64 v[22:23], |v[6:7]|, 0.5
	s_waitcnt vmcnt(1)
	v_mul_f64 v[32:33], v[32:33], v[32:33]
	s_waitcnt vmcnt(0)
	v_mul_f64 v[30:31], v[34:35], v[34:35]
	v_div_scale_f64 v[34:35], s[0:1], v[38:39], v[38:39], v[32:33]
	v_rcp_f64_e32 v[36:37], v[34:35]
	v_div_scale_f64 v[40:41], vcc, v[32:33], v[38:39], v[32:33]
	v_add_f64 v[42:43], v[30:31], v[30:31]
	v_fma_f64 v[44:45], -v[34:35], v[36:37], 1.0
	v_fmac_f64_e32 v[36:37], v[36:37], v[44:45]
	v_fma_f64 v[44:45], -v[34:35], v[36:37], 1.0
	v_fmac_f64_e32 v[36:37], v[36:37], v[44:45]
	v_mul_f64 v[44:45], v[40:41], v[36:37]
	v_fma_f64 v[34:35], -v[34:35], v[44:45], v[40:41]
	v_div_fmas_f64 v[34:35], v[34:35], v[36:37], v[44:45]
	v_div_fixup_f64 v[34:35], v[34:35], v[38:39], v[32:33]
	v_mul_f64 v[42:43], v[18:19], v[42:43]
	v_add_f64 v[34:35], v[26:27], v[34:35]
	v_cmp_ngt_f64_e32 vcc, v[34:35], v[42:43]
	v_add_f64 v[34:35], v[16:17], -v[28:29]
                                        ; implicit-def: $vgpr28_vgpr29
	s_and_saveexec_b64 s[0:1], vcc
	s_xor_b64 s[0:1], exec, s[0:1]
	s_cbranch_execz .LBB47_131
; %bb.124:
	v_add_f64 v[28:29], |v[6:7]|, v[34:35]
	v_div_scale_f64 v[36:37], s[2:3], v[28:29], v[28:29], v[32:33]
	v_rcp_f64_e32 v[38:39], v[36:37]
	v_div_scale_f64 v[40:41], vcc, v[32:33], v[28:29], v[32:33]
	v_fma_f64 v[42:43], -v[36:37], v[38:39], 1.0
	v_fmac_f64_e32 v[38:39], v[38:39], v[42:43]
	v_fma_f64 v[42:43], -v[36:37], v[38:39], 1.0
	v_fmac_f64_e32 v[38:39], v[38:39], v[42:43]
	v_mul_f64 v[42:43], v[40:41], v[38:39]
	v_fma_f64 v[36:37], -v[36:37], v[42:43], v[40:41]
	v_div_scale_f64 v[40:41], s[2:3], v[20:21], v[20:21], v[30:31]
	v_rcp_f64_e32 v[44:45], v[40:41]
	v_div_fmas_f64 v[36:37], v[36:37], v[38:39], v[42:43]
	v_div_fixup_f64 v[28:29], v[36:37], v[28:29], v[32:33]
	v_fma_f64 v[36:37], -v[40:41], v[44:45], 1.0
	v_fmac_f64_e32 v[44:45], v[44:45], v[36:37]
	v_fma_f64 v[36:37], -v[40:41], v[44:45], 1.0
	v_fmac_f64_e32 v[44:45], v[44:45], v[36:37]
	v_div_scale_f64 v[36:37], vcc, v[30:31], v[20:21], v[30:31]
	v_mul_f64 v[38:39], v[36:37], v[44:45]
	v_fma_f64 v[36:37], -v[40:41], v[38:39], v[36:37]
	s_nop 1
	v_div_fmas_f64 v[36:37], v[36:37], v[44:45], v[38:39]
	v_div_fixup_f64 v[36:37], v[36:37], |v[6:7]|, v[30:31]
	v_add_f64 v[28:29], v[28:29], v[36:37]
	v_cmp_nle_f64_e32 vcc, v[26:27], v[28:29]
	v_pk_mov_b32 v[28:29], v[20:21], v[20:21] op_sel:[0,1]
	s_and_saveexec_b64 s[2:3], vcc
	s_cbranch_execz .LBB47_130
; %bb.125:
	v_fma_f64 v[28:29], -v[34:35], v[26:27], v[32:33]
	v_add_f64 v[28:29], v[30:31], v[28:29]
	v_mul_f64 v[30:31], v[34:35], v[30:31]
	v_mul_f64 v[32:33], v[30:31], 4.0
	v_mul_f64 v[32:33], v[26:27], v[32:33]
	s_mov_b32 s6, 0
	v_fmac_f64_e32 v[32:33], v[28:29], v[28:29]
	s_brev_b32 s7, 8
	v_cmp_gt_f64_e32 vcc, s[6:7], v[32:33]
	v_cndmask_b32_e64 v1, 0, 1, vcc
	v_lshlrev_b32_e32 v1, 8, v1
	v_ldexp_f64 v[32:33], v[32:33], v1
	v_rsq_f64_e32 v[34:35], v[32:33]
	v_mov_b32_e32 v1, 0xffffff80
	v_cndmask_b32_e32 v1, 0, v1, vcc
	v_mul_f64 v[36:37], v[32:33], v[34:35]
	v_mul_f64 v[34:35], v[34:35], 0.5
	v_fma_f64 v[38:39], -v[34:35], v[36:37], 0.5
	v_fmac_f64_e32 v[36:37], v[36:37], v[38:39]
	v_fma_f64 v[40:41], -v[36:37], v[36:37], v[32:33]
	v_fmac_f64_e32 v[34:35], v[34:35], v[38:39]
	v_fmac_f64_e32 v[36:37], v[40:41], v[34:35]
	v_fma_f64 v[38:39], -v[36:37], v[36:37], v[32:33]
	v_fmac_f64_e32 v[36:37], v[38:39], v[34:35]
	v_ldexp_f64 v[34:35], v[36:37], v1
	v_mov_b32_e32 v1, 0x260
	v_cmp_class_f64_e32 vcc, v[32:33], v1
	v_cndmask_b32_e32 v35, v35, v33, vcc
	v_cndmask_b32_e32 v34, v34, v32, vcc
	v_cmp_ngt_f64_e32 vcc, 0, v[28:29]
                                        ; implicit-def: $vgpr32_vgpr33
	s_and_saveexec_b64 s[6:7], vcc
	s_xor_b64 s[6:7], exec, s[6:7]
	s_cbranch_execz .LBB47_127
; %bb.126:
	v_add_f64 v[28:29], v[28:29], v[34:35]
	v_add_f64 v[26:27], v[26:27], v[26:27]
	v_div_scale_f64 v[30:31], s[8:9], v[26:27], v[26:27], v[28:29]
	v_rcp_f64_e32 v[32:33], v[30:31]
	v_fma_f64 v[34:35], -v[30:31], v[32:33], 1.0
	v_fmac_f64_e32 v[32:33], v[32:33], v[34:35]
	v_fma_f64 v[34:35], -v[30:31], v[32:33], 1.0
	v_fmac_f64_e32 v[32:33], v[32:33], v[34:35]
	v_div_scale_f64 v[34:35], vcc, v[28:29], v[26:27], v[28:29]
	v_mul_f64 v[36:37], v[34:35], v[32:33]
	v_fma_f64 v[30:31], -v[30:31], v[36:37], v[34:35]
                                        ; implicit-def: $vgpr34_vgpr35
	s_nop 1
	v_div_fmas_f64 v[30:31], v[30:31], v[32:33], v[36:37]
	v_div_fixup_f64 v[32:33], v[30:31], v[26:27], v[28:29]
                                        ; implicit-def: $vgpr30_vgpr31
                                        ; implicit-def: $vgpr28_vgpr29
.LBB47_127:
	s_andn2_saveexec_b64 s[6:7], s[6:7]
	s_cbranch_execz .LBB47_129
; %bb.128:
	v_add_f64 v[26:27], v[30:31], v[30:31]
	v_add_f64 v[28:29], v[34:35], -v[28:29]
	v_div_scale_f64 v[30:31], s[8:9], v[28:29], v[28:29], v[26:27]
	v_rcp_f64_e32 v[32:33], v[30:31]
	v_fma_f64 v[34:35], -v[30:31], v[32:33], 1.0
	v_fmac_f64_e32 v[32:33], v[32:33], v[34:35]
	v_fma_f64 v[34:35], -v[30:31], v[32:33], 1.0
	v_fmac_f64_e32 v[32:33], v[32:33], v[34:35]
	v_div_scale_f64 v[34:35], vcc, v[26:27], v[28:29], v[26:27]
	v_mul_f64 v[36:37], v[34:35], v[32:33]
	v_fma_f64 v[30:31], -v[30:31], v[36:37], v[34:35]
	s_nop 1
	v_div_fmas_f64 v[30:31], v[30:31], v[32:33], v[36:37]
	v_div_fixup_f64 v[32:33], v[30:31], v[28:29], v[26:27]
.LBB47_129:
	s_or_b64 exec, exec, s[6:7]
	v_pk_mov_b32 v[28:29], v[20:21], v[20:21] op_sel:[0,1]
	v_pk_mov_b32 v[20:21], v[32:33], v[32:33] op_sel:[0,1]
.LBB47_130:
	s_or_b64 exec, exec, s[2:3]
                                        ; implicit-def: $vgpr34_vgpr35
                                        ; implicit-def: $vgpr26_vgpr27
                                        ; implicit-def: $vgpr32_vgpr33
                                        ; implicit-def: $vgpr30_vgpr31
.LBB47_131:
	s_andn2_saveexec_b64 s[0:1], s[0:1]
	s_cbranch_execz .LBB47_137
; %bb.132:
	v_fma_f64 v[20:21], -v[34:35], v[26:27], v[32:33]
	v_add_f64 v[28:29], v[30:31], v[20:21]
	v_mul_f64 v[30:31], v[34:35], v[30:31]
	v_mul_f64 v[20:21], v[30:31], 4.0
	v_mul_f64 v[20:21], v[26:27], v[20:21]
	s_mov_b32 s2, 0
	v_fmac_f64_e32 v[20:21], v[28:29], v[28:29]
	s_brev_b32 s3, 8
	v_cmp_gt_f64_e32 vcc, s[2:3], v[20:21]
	v_cndmask_b32_e64 v1, 0, 1, vcc
	v_lshlrev_b32_e32 v1, 8, v1
	v_ldexp_f64 v[20:21], v[20:21], v1
	v_rsq_f64_e32 v[32:33], v[20:21]
	v_mov_b32_e32 v1, 0xffffff80
	v_cndmask_b32_e32 v1, 0, v1, vcc
	s_mov_b64 s[2:3], 0
	v_mul_f64 v[34:35], v[20:21], v[32:33]
	v_mul_f64 v[32:33], v[32:33], 0.5
	v_fma_f64 v[36:37], -v[32:33], v[34:35], 0.5
	v_fmac_f64_e32 v[34:35], v[34:35], v[36:37]
	v_fma_f64 v[38:39], -v[34:35], v[34:35], v[20:21]
	v_fmac_f64_e32 v[32:33], v[32:33], v[36:37]
	v_fmac_f64_e32 v[34:35], v[38:39], v[32:33]
	v_fma_f64 v[36:37], -v[34:35], v[34:35], v[20:21]
	v_fmac_f64_e32 v[34:35], v[36:37], v[32:33]
	v_ldexp_f64 v[32:33], v[34:35], v1
	v_mov_b32_e32 v1, 0x260
	v_cmp_class_f64_e32 vcc, v[20:21], v1
	v_cndmask_b32_e32 v33, v33, v21, vcc
	v_cndmask_b32_e32 v32, v32, v20, vcc
	v_cmp_ngt_f64_e32 vcc, 0, v[28:29]
                                        ; implicit-def: $vgpr20_vgpr21
	s_and_saveexec_b64 s[6:7], vcc
	s_xor_b64 s[6:7], exec, s[6:7]
	s_cbranch_execz .LBB47_134
; %bb.133:
	v_add_f64 v[20:21], v[28:29], v[32:33]
	v_add_f64 v[26:27], v[26:27], v[26:27]
	v_div_scale_f64 v[28:29], s[8:9], v[26:27], v[26:27], v[20:21]
	v_rcp_f64_e32 v[30:31], v[28:29]
	v_fma_f64 v[32:33], -v[28:29], v[30:31], 1.0
	v_fmac_f64_e32 v[30:31], v[30:31], v[32:33]
	v_fma_f64 v[32:33], -v[28:29], v[30:31], 1.0
	v_fmac_f64_e32 v[30:31], v[30:31], v[32:33]
	v_div_scale_f64 v[32:33], vcc, v[20:21], v[26:27], v[20:21]
	v_mul_f64 v[34:35], v[32:33], v[30:31]
	v_fma_f64 v[28:29], -v[28:29], v[34:35], v[32:33]
                                        ; implicit-def: $vgpr32_vgpr33
	s_nop 1
	v_div_fmas_f64 v[28:29], v[28:29], v[30:31], v[34:35]
	v_div_fixup_f64 v[20:21], v[28:29], v[26:27], v[20:21]
                                        ; implicit-def: $vgpr30_vgpr31
                                        ; implicit-def: $vgpr28_vgpr29
.LBB47_134:
	s_or_saveexec_b64 s[6:7], s[6:7]
	v_pk_mov_b32 v[26:27], s[2:3], s[2:3] op_sel:[0,1]
	s_xor_b64 exec, exec, s[6:7]
	s_cbranch_execz .LBB47_136
; %bb.135:
	v_add_f64 v[20:21], v[30:31], v[30:31]
	v_add_f64 v[26:27], v[32:33], -v[28:29]
	v_div_scale_f64 v[28:29], s[2:3], v[26:27], v[26:27], v[20:21]
	v_rcp_f64_e32 v[30:31], v[28:29]
	v_fma_f64 v[32:33], -v[28:29], v[30:31], 1.0
	v_fmac_f64_e32 v[30:31], v[30:31], v[32:33]
	v_fma_f64 v[32:33], -v[28:29], v[30:31], 1.0
	v_fmac_f64_e32 v[30:31], v[30:31], v[32:33]
	v_div_scale_f64 v[32:33], vcc, v[20:21], v[26:27], v[20:21]
	v_mul_f64 v[34:35], v[32:33], v[30:31]
	v_fma_f64 v[28:29], -v[28:29], v[34:35], v[32:33]
	s_nop 1
	v_div_fmas_f64 v[28:29], v[28:29], v[30:31], v[34:35]
	v_div_fixup_f64 v[20:21], v[28:29], v[26:27], v[20:21]
	v_pk_mov_b32 v[26:27], 0, 0
.LBB47_136:
	s_or_b64 exec, exec, s[6:7]
	v_pk_mov_b32 v[28:29], v[22:23], v[22:23] op_sel:[0,1]
	v_pk_mov_b32 v[22:23], v[26:27], v[26:27] op_sel:[0,1]
.LBB47_137:
	s_or_b64 exec, exec, s[0:1]
	v_cmp_lt_i32_e64 s[0:1], 1, v24
	v_pk_mov_b32 v[24:25], v[16:17], v[16:17] op_sel:[0,1]
	s_and_saveexec_b64 s[2:3], s[0:1]
	s_cbranch_execz .LBB47_141
; %bb.138:
	s_mov_b64 s[6:7], 0
	v_pk_mov_b32 v[24:25], v[8:9], v[8:9] op_sel:[0,1]
	v_mov_b32_e32 v1, v0
.LBB47_139:                             ; =>This Inner Loop Header: Depth=1
	global_load_dwordx2 v[26:27], v[24:25], off
	v_add_u32_e32 v1, -1, v1
	v_cmp_eq_u32_e32 vcc, 0, v1
	s_or_b64 s[6:7], vcc, s[6:7]
	s_waitcnt vmcnt(0)
	v_add_f64 v[26:27], v[26:27], -v[16:17]
	global_store_dwordx2 v[24:25], v[26:27], off
	v_add_co_u32_e32 v24, vcc, 8, v24
	v_addc_co_u32_e32 v25, vcc, 0, v25, vcc
	s_andn2_b64 exec, exec, s[6:7]
	s_cbranch_execnz .LBB47_139
; %bb.140:
	s_or_b64 exec, exec, s[6:7]
	global_load_dwordx2 v[24:25], v[10:11], off
.LBB47_141:
	s_or_b64 exec, exec, s[2:3]
	v_pk_mov_b32 v[30:31], 0, 0
	s_waitcnt vmcnt(0)
	v_add_f64 v[26:27], v[24:25], -v[16:17]
	v_pk_mov_b32 v[24:25], v[30:31], v[30:31] op_sel:[0,1]
	v_pk_mov_b32 v[36:37], v[30:31], v[30:31] op_sel:[0,1]
	global_store_dwordx2 v[10:11], v[26:27], off
	s_and_saveexec_b64 s[2:3], s[0:1]
	s_cbranch_execz .LBB47_145
; %bb.142:
	v_pk_mov_b32 v[30:31], 0, 0
	s_mov_b64 s[6:7], 0
	v_pk_mov_b32 v[26:27], v[12:13], v[12:13] op_sel:[0,1]
	v_pk_mov_b32 v[32:33], v[8:9], v[8:9] op_sel:[0,1]
	v_mov_b32_e32 v1, v0
	v_pk_mov_b32 v[24:25], v[30:31], v[30:31] op_sel:[0,1]
	v_pk_mov_b32 v[36:37], v[30:31], v[30:31] op_sel:[0,1]
.LBB47_143:                             ; =>This Inner Loop Header: Depth=1
	global_load_dwordx2 v[34:35], v[32:33], off
	v_add_u32_e32 v1, -1, v1
	v_cmp_eq_u32_e32 vcc, 0, v1
	s_or_b64 s[6:7], vcc, s[6:7]
	s_waitcnt vmcnt(0)
	v_add_f64 v[34:35], v[34:35], -v[20:21]
	global_store_dwordx2 v[32:33], v[34:35], off
	global_load_dwordx2 v[38:39], v[26:27], off
	v_add_co_u32_e32 v32, vcc, 8, v32
	v_addc_co_u32_e32 v33, vcc, 0, v33, vcc
	v_add_co_u32_e32 v26, vcc, 8, v26
	v_addc_co_u32_e32 v27, vcc, 0, v27, vcc
	s_waitcnt vmcnt(0)
	v_div_scale_f64 v[40:41], s[8:9], v[34:35], v[34:35], v[38:39]
	v_rcp_f64_e32 v[42:43], v[40:41]
	v_div_scale_f64 v[44:45], vcc, v[38:39], v[34:35], v[38:39]
	v_fma_f64 v[46:47], -v[40:41], v[42:43], 1.0
	v_fmac_f64_e32 v[42:43], v[42:43], v[46:47]
	v_fma_f64 v[46:47], -v[40:41], v[42:43], 1.0
	v_fmac_f64_e32 v[42:43], v[42:43], v[46:47]
	v_mul_f64 v[46:47], v[44:45], v[42:43]
	v_fma_f64 v[40:41], -v[40:41], v[46:47], v[44:45]
	v_div_fmas_f64 v[40:41], v[40:41], v[42:43], v[46:47]
	v_div_fixup_f64 v[34:35], v[40:41], v[34:35], v[38:39]
	v_fmac_f64_e32 v[36:37], v[38:39], v[34:35]
	v_fmac_f64_e32 v[30:31], v[34:35], v[34:35]
	v_add_f64 v[24:25], v[24:25], v[36:37]
	s_andn2_b64 exec, exec, s[6:7]
	s_cbranch_execnz .LBB47_143
; %bb.144:
	s_or_b64 exec, exec, s[6:7]
	global_load_dwordx2 v[26:27], v[10:11], off
.LBB47_145:
	s_or_b64 exec, exec, s[2:3]
	s_waitcnt vmcnt(0)
	v_add_f64 v[26:27], v[26:27], -v[20:21]
	global_store_dwordx2 v[10:11], v[26:27], off
	global_load_dwordx2 v[32:33], v[14:15], off
	v_add_f64 v[40:41], v[18:19], v[36:37]
	s_waitcnt vmcnt(0)
	v_div_scale_f64 v[34:35], s[2:3], v[26:27], v[26:27], v[32:33]
	v_rcp_f64_e32 v[38:39], v[34:35]
	v_div_scale_f64 v[42:43], vcc, v[32:33], v[26:27], v[32:33]
	v_fma_f64 v[44:45], -v[34:35], v[38:39], 1.0
	v_fmac_f64_e32 v[38:39], v[38:39], v[44:45]
	v_fma_f64 v[44:45], -v[34:35], v[38:39], 1.0
	v_fmac_f64_e32 v[38:39], v[38:39], v[44:45]
	v_mul_f64 v[44:45], v[42:43], v[38:39]
	v_fma_f64 v[34:35], -v[34:35], v[44:45], v[42:43]
	v_div_fmas_f64 v[34:35], v[34:35], v[38:39], v[44:45]
	v_div_fixup_f64 v[38:39], v[34:35], v[26:27], v[32:33]
	v_fma_f64 v[42:43], v[32:33], v[38:39], 0
	v_add_f64 v[36:37], v[36:37], v[42:43]
	v_fma_f64 v[34:35], v[38:39], v[38:39], v[30:31]
	v_ldexp_f64 v[36:37], -v[36:37], 3
	v_fma_f64 v[36:37], |v[20:21]|, v[34:35], v[36:37]
	v_add_f64 v[36:37], v[36:37], -v[42:43]
	v_add_f64 v[24:25], |v[24:25]|, v[42:43]
	v_add_f64 v[36:37], v[18:19], v[36:37]
	v_add_f64 v[24:25], v[24:25], v[36:37]
	;; [unrolled: 1-line block ×3, first 2 shown]
	v_mul_f64 v[24:25], v[24:25], s[18:19]
	v_cmp_nle_f64_e64 s[2:3], |v[32:33]|, v[24:25]
	s_and_saveexec_b64 s[6:7], s[2:3]
	s_cbranch_execz .LBB47_187
; %bb.146:
	global_load_dwordx2 v[40:41], v[2:3], off offset:-16
	v_cmp_lt_f64_e32 vcc, 0, v[32:33]
	v_cmp_lt_f64_e64 s[2:3], v[20:21], v[28:29]
	s_and_b64 vcc, s[2:3], vcc
	v_mul_f64 v[36:37], v[38:39], v[38:39]
	v_cndmask_b32_e32 v25, v29, v21, vcc
	v_cndmask_b32_e32 v24, v28, v20, vcc
	s_waitcnt vmcnt(0)
	v_fma_f64 v[28:29], -v[30:31], v[40:41], v[32:33]
	v_fma_f64 v[36:37], -v[26:27], v[36:37], v[28:29]
	v_cmp_neq_f64_e32 vcc, 0, v[36:37]
                                        ; implicit-def: $vgpr30_vgpr31
	s_and_saveexec_b64 s[2:3], vcc
	s_xor_b64 s[2:3], exec, s[2:3]
	s_cbranch_execz .LBB47_152
; %bb.147:
	v_mul_f64 v[30:31], v[26:27], v[40:41]
	v_add_f64 v[28:29], v[26:27], v[40:41]
	v_mul_f64 v[38:39], v[34:35], v[30:31]
	v_fma_f64 v[28:29], v[32:33], v[28:29], -v[38:39]
	v_mul_f64 v[38:39], v[32:33], v[30:31]
	v_mul_f64 v[30:31], v[38:39], -4.0
	v_mul_f64 v[30:31], v[30:31], |v[36:37]|
	s_mov_b32 s8, 0
	v_fmac_f64_e32 v[30:31], v[28:29], v[28:29]
	s_brev_b32 s9, 8
	v_cmp_lt_f64_e64 vcc, |v[30:31]|, s[8:9]
	v_cndmask_b32_e64 v1, 0, 1, vcc
	v_lshlrev_b32_e32 v1, 8, v1
	v_ldexp_f64 v[30:31], |v[30:31]|, v1
	v_rsq_f64_e32 v[40:41], v[30:31]
	v_mov_b32_e32 v1, 0xffffff80
	v_cndmask_b32_e32 v1, 0, v1, vcc
	v_mul_f64 v[42:43], v[30:31], v[40:41]
	v_mul_f64 v[40:41], v[40:41], 0.5
	v_fma_f64 v[44:45], -v[40:41], v[42:43], 0.5
	v_fmac_f64_e32 v[42:43], v[42:43], v[44:45]
	v_fma_f64 v[46:47], -v[42:43], v[42:43], v[30:31]
	v_fmac_f64_e32 v[40:41], v[40:41], v[44:45]
	v_fmac_f64_e32 v[42:43], v[46:47], v[40:41]
	v_fma_f64 v[44:45], -v[42:43], v[42:43], v[30:31]
	v_fmac_f64_e32 v[42:43], v[44:45], v[40:41]
	v_ldexp_f64 v[40:41], v[42:43], v1
	v_mov_b32_e32 v1, 0x260
	v_cmp_class_f64_e32 vcc, v[30:31], v1
	v_cndmask_b32_e32 v41, v41, v31, vcc
	v_cndmask_b32_e32 v40, v40, v30, vcc
	v_cmp_le_f64_e32 vcc, 0, v[28:29]
                                        ; implicit-def: $vgpr30_vgpr31
	s_and_saveexec_b64 s[8:9], vcc
	s_xor_b64 s[8:9], exec, s[8:9]
	s_cbranch_execz .LBB47_149
; %bb.148:
	v_add_f64 v[28:29], v[28:29], v[40:41]
	v_add_f64 v[30:31], |v[36:37]|, |v[36:37]|
	v_div_scale_f64 v[36:37], s[10:11], v[30:31], v[30:31], v[28:29]
	v_rcp_f64_e32 v[38:39], v[36:37]
	v_fma_f64 v[40:41], -v[36:37], v[38:39], 1.0
	v_fmac_f64_e32 v[38:39], v[38:39], v[40:41]
	v_fma_f64 v[40:41], -v[36:37], v[38:39], 1.0
	v_fmac_f64_e32 v[38:39], v[38:39], v[40:41]
	v_div_scale_f64 v[40:41], vcc, v[28:29], v[30:31], v[28:29]
	v_mul_f64 v[42:43], v[40:41], v[38:39]
	v_fma_f64 v[36:37], -v[36:37], v[42:43], v[40:41]
                                        ; implicit-def: $vgpr40_vgpr41
	s_nop 1
	v_div_fmas_f64 v[36:37], v[36:37], v[38:39], v[42:43]
	v_div_fixup_f64 v[30:31], v[36:37], v[30:31], v[28:29]
                                        ; implicit-def: $vgpr38_vgpr39
                                        ; implicit-def: $vgpr28_vgpr29
.LBB47_149:
	s_andn2_saveexec_b64 s[8:9], s[8:9]
	s_cbranch_execz .LBB47_151
; %bb.150:
	v_add_f64 v[30:31], v[38:39], v[38:39]
	v_add_f64 v[28:29], v[28:29], -v[40:41]
	v_div_scale_f64 v[36:37], s[10:11], v[28:29], v[28:29], v[30:31]
	v_rcp_f64_e32 v[38:39], v[36:37]
	v_fma_f64 v[40:41], -v[36:37], v[38:39], 1.0
	v_fmac_f64_e32 v[38:39], v[38:39], v[40:41]
	v_fma_f64 v[40:41], -v[36:37], v[38:39], 1.0
	v_fmac_f64_e32 v[38:39], v[38:39], v[40:41]
	v_div_scale_f64 v[40:41], vcc, v[30:31], v[28:29], v[30:31]
	v_mul_f64 v[42:43], v[40:41], v[38:39]
	v_fma_f64 v[36:37], -v[36:37], v[42:43], v[40:41]
	s_nop 1
	v_div_fmas_f64 v[36:37], v[36:37], v[38:39], v[42:43]
	v_div_fixup_f64 v[30:31], v[36:37], v[28:29], v[30:31]
.LBB47_151:
	s_or_b64 exec, exec, s[8:9]
.LBB47_152:
	s_andn2_saveexec_b64 s[2:3], s[2:3]
; %bb.153:
	v_add_f64 v[30:31], v[24:25], -v[20:21]
; %bb.154:
	s_or_b64 exec, exec, s[2:3]
	v_mul_f64 v[28:29], v[32:33], v[30:31]
	v_cmp_lt_f64_e32 vcc, 0, v[28:29]
	s_and_saveexec_b64 s[2:3], vcc
; %bb.155:
	v_div_scale_f64 v[28:29], s[8:9], v[34:35], v[34:35], -v[32:33]
	v_rcp_f64_e32 v[30:31], v[28:29]
	v_div_scale_f64 v[36:37], vcc, -v[32:33], v[34:35], -v[32:33]
	v_fma_f64 v[38:39], -v[28:29], v[30:31], 1.0
	v_fmac_f64_e32 v[30:31], v[30:31], v[38:39]
	v_fma_f64 v[38:39], -v[28:29], v[30:31], 1.0
	v_fmac_f64_e32 v[30:31], v[30:31], v[38:39]
	v_mul_f64 v[38:39], v[36:37], v[30:31]
	v_fma_f64 v[28:29], -v[28:29], v[38:39], v[36:37]
	v_div_fmas_f64 v[28:29], v[28:29], v[30:31], v[38:39]
	v_div_fixup_f64 v[30:31], v[28:29], v[34:35], -v[32:33]
; %bb.156:
	s_or_b64 exec, exec, s[2:3]
	v_cmp_lt_f64_e32 vcc, v[22:23], v[20:21]
	v_cndmask_b32_e32 v1, v22, v20, vcc
	v_cndmask_b32_e32 v28, v23, v21, vcc
	v_cmp_nge_f64_e32 vcc, 0, v[32:33]
	v_cndmask_b32_e32 v23, v28, v23, vcc
	v_cndmask_b32_e32 v22, v1, v22, vcc
	v_add_f64 v[28:29], v[20:21], v[30:31]
	v_cmp_gt_f64_e32 vcc, v[28:29], v[24:25]
	v_cmp_lt_f64_e64 s[2:3], v[28:29], v[22:23]
	s_or_b64 s[8:9], vcc, s[2:3]
	s_and_saveexec_b64 s[2:3], s[8:9]
	s_cbranch_execz .LBB47_162
; %bb.157:
	v_cmp_ngt_f64_e32 vcc, 0, v[32:33]
                                        ; implicit-def: $vgpr30_vgpr31
	s_and_saveexec_b64 s[8:9], vcc
	s_xor_b64 s[8:9], exec, s[8:9]
; %bb.158:
	v_add_f64 v[28:29], v[22:23], -v[20:21]
	v_mul_f64 v[30:31], v[28:29], 0.5
; %bb.159:
	s_andn2_saveexec_b64 s[8:9], s[8:9]
; %bb.160:
	v_add_f64 v[28:29], v[24:25], -v[20:21]
	v_mul_f64 v[30:31], v[28:29], 0.5
; %bb.161:
	s_or_b64 exec, exec, s[8:9]
.LBB47_162:
	s_or_b64 exec, exec, s[2:3]
	v_pk_mov_b32 v[28:29], 0, 0
	v_pk_mov_b32 v[32:33], v[28:29], v[28:29] op_sel:[0,1]
	v_pk_mov_b32 v[34:35], v[28:29], v[28:29] op_sel:[0,1]
	s_and_saveexec_b64 s[2:3], s[0:1]
	s_cbranch_execz .LBB47_166
; %bb.163:
	v_pk_mov_b32 v[28:29], 0, 0
	s_mov_b64 s[8:9], 0
	v_pk_mov_b32 v[26:27], v[12:13], v[12:13] op_sel:[0,1]
	v_pk_mov_b32 v[36:37], v[8:9], v[8:9] op_sel:[0,1]
	v_mov_b32_e32 v1, v0
	v_pk_mov_b32 v[32:33], v[28:29], v[28:29] op_sel:[0,1]
	v_pk_mov_b32 v[34:35], v[28:29], v[28:29] op_sel:[0,1]
.LBB47_164:                             ; =>This Inner Loop Header: Depth=1
	global_load_dwordx2 v[38:39], v[36:37], off
	v_add_u32_e32 v1, -1, v1
	v_cmp_eq_u32_e32 vcc, 0, v1
	s_or_b64 s[8:9], vcc, s[8:9]
	s_waitcnt vmcnt(0)
	v_add_f64 v[38:39], v[38:39], -v[30:31]
	global_store_dwordx2 v[36:37], v[38:39], off
	global_load_dwordx2 v[40:41], v[26:27], off
	v_add_co_u32_e32 v36, vcc, 8, v36
	v_addc_co_u32_e32 v37, vcc, 0, v37, vcc
	v_add_co_u32_e32 v26, vcc, 8, v26
	v_addc_co_u32_e32 v27, vcc, 0, v27, vcc
	s_waitcnt vmcnt(0)
	v_div_scale_f64 v[42:43], s[10:11], v[38:39], v[38:39], v[40:41]
	v_rcp_f64_e32 v[44:45], v[42:43]
	v_div_scale_f64 v[46:47], vcc, v[40:41], v[38:39], v[40:41]
	v_fma_f64 v[48:49], -v[42:43], v[44:45], 1.0
	v_fmac_f64_e32 v[44:45], v[44:45], v[48:49]
	v_fma_f64 v[48:49], -v[42:43], v[44:45], 1.0
	v_fmac_f64_e32 v[44:45], v[44:45], v[48:49]
	v_mul_f64 v[48:49], v[46:47], v[44:45]
	v_fma_f64 v[42:43], -v[42:43], v[48:49], v[46:47]
	v_div_fmas_f64 v[42:43], v[42:43], v[44:45], v[48:49]
	v_div_fixup_f64 v[38:39], v[42:43], v[38:39], v[40:41]
	v_fmac_f64_e32 v[34:35], v[40:41], v[38:39]
	v_fmac_f64_e32 v[28:29], v[38:39], v[38:39]
	v_add_f64 v[32:33], v[32:33], v[34:35]
	s_andn2_b64 exec, exec, s[8:9]
	s_cbranch_execnz .LBB47_164
; %bb.165:
	s_or_b64 exec, exec, s[8:9]
	global_load_dwordx2 v[26:27], v[10:11], off
.LBB47_166:
	s_or_b64 exec, exec, s[2:3]
	s_waitcnt vmcnt(0)
	v_add_f64 v[26:27], v[26:27], -v[30:31]
	global_store_dwordx2 v[10:11], v[26:27], off
	global_load_dwordx2 v[38:39], v[14:15], off
	v_add_f64 v[20:21], v[20:21], v[30:31]
	v_add_f64 v[40:41], v[18:19], v[34:35]
	s_waitcnt vmcnt(0)
	v_div_scale_f64 v[30:31], s[2:3], v[26:27], v[26:27], v[38:39]
	v_rcp_f64_e32 v[36:37], v[30:31]
	v_div_scale_f64 v[42:43], vcc, v[38:39], v[26:27], v[38:39]
	v_fma_f64 v[44:45], -v[30:31], v[36:37], 1.0
	v_fmac_f64_e32 v[36:37], v[36:37], v[44:45]
	v_fma_f64 v[44:45], -v[30:31], v[36:37], 1.0
	v_fmac_f64_e32 v[36:37], v[36:37], v[44:45]
	v_mul_f64 v[44:45], v[42:43], v[36:37]
	v_fma_f64 v[30:31], -v[30:31], v[44:45], v[42:43]
	v_div_fmas_f64 v[30:31], v[30:31], v[36:37], v[44:45]
	v_div_fixup_f64 v[36:37], v[30:31], v[26:27], v[38:39]
	v_fma_f64 v[38:39], v[38:39], v[36:37], 0
	v_add_f64 v[34:35], v[34:35], v[38:39]
	v_fma_f64 v[42:43], v[36:37], v[36:37], v[28:29]
	v_ldexp_f64 v[34:35], -v[34:35], 3
	v_fma_f64 v[34:35], |v[20:21]|, v[42:43], v[34:35]
	v_add_f64 v[34:35], v[34:35], -v[38:39]
	v_add_f64 v[32:33], |v[32:33]|, v[38:39]
	v_add_f64 v[34:35], v[18:19], v[34:35]
	v_add_f64 v[32:33], v[32:33], v[34:35]
	;; [unrolled: 1-line block ×3, first 2 shown]
	v_mul_f64 v[32:33], v[32:33], s[18:19]
	v_cmp_nle_f64_e64 s[2:3], |v[30:31]|, v[32:33]
	s_and_saveexec_b64 s[8:9], s[2:3]
	s_cbranch_execz .LBB47_186
; %bb.167:
	s_mov_b32 s12, 0
	v_mul_f64 v[32:33], v[36:37], v[36:37]
	s_mov_b32 s16, 1
	s_mov_b64 s[10:11], 0
	s_brev_b32 s13, 8
	v_mov_b32_e32 v1, 0xffffff80
	v_mov_b32_e32 v42, 0x260
	s_branch .LBB47_169
.LBB47_168:                             ;   in Loop: Header=BB47_169 Depth=1
	s_or_b64 exec, exec, s[2:3]
	s_waitcnt vmcnt(0)
	v_add_f64 v[26:27], v[26:27], -v[32:33]
	global_store_dwordx2 v[10:11], v[26:27], off
	global_load_dwordx2 v[36:37], v[14:15], off
	v_add_f64 v[20:21], v[20:21], v[32:33]
	v_add_f64 v[38:39], v[18:19], v[34:35]
	s_add_i32 s14, s16, 1
	s_cmp_gt_u32 s16, 48
	s_mov_b32 s16, s14
	s_waitcnt vmcnt(0)
	v_div_scale_f64 v[32:33], s[2:3], v[26:27], v[26:27], v[36:37]
	v_rcp_f64_e32 v[40:41], v[32:33]
	v_div_scale_f64 v[44:45], vcc, v[36:37], v[26:27], v[36:37]
	s_cselect_b64 s[2:3], -1, 0
	v_fma_f64 v[46:47], -v[32:33], v[40:41], 1.0
	v_fmac_f64_e32 v[40:41], v[40:41], v[46:47]
	v_fma_f64 v[46:47], -v[32:33], v[40:41], 1.0
	v_fmac_f64_e32 v[40:41], v[40:41], v[46:47]
	v_mul_f64 v[46:47], v[44:45], v[40:41]
	v_fma_f64 v[32:33], -v[32:33], v[46:47], v[44:45]
	v_div_fmas_f64 v[32:33], v[32:33], v[40:41], v[46:47]
	v_div_fixup_f64 v[40:41], v[32:33], v[26:27], v[36:37]
	v_fma_f64 v[36:37], v[36:37], v[40:41], 0
	v_add_f64 v[34:35], v[34:35], v[36:37]
	v_mul_f64 v[32:33], v[40:41], v[40:41]
	v_fma_f64 v[40:41], v[40:41], v[40:41], v[28:29]
	v_ldexp_f64 v[34:35], -v[34:35], 3
	v_fma_f64 v[34:35], |v[20:21]|, v[40:41], v[34:35]
	v_add_f64 v[34:35], v[34:35], -v[36:37]
	v_add_f64 v[44:45], |v[30:31]|, v[36:37]
	v_add_f64 v[34:35], v[18:19], v[34:35]
	v_add_f64 v[30:31], v[38:39], v[36:37]
	v_add_f64 v[34:35], v[44:45], v[34:35]
	v_and_b32_e32 v39, 0x7fffffff, v31
	v_mov_b32_e32 v38, v30
	v_mul_f64 v[34:35], v[34:35], s[18:19]
	v_cmp_le_f64_e32 vcc, v[38:39], v[34:35]
	s_or_b64 s[2:3], s[2:3], vcc
	s_and_b64 s[2:3], exec, s[2:3]
	s_or_b64 s[10:11], s[2:3], s[10:11]
	s_andn2_b64 exec, exec, s[10:11]
	s_cbranch_execz .LBB47_185
.LBB47_169:                             ; =>This Loop Header: Depth=1
                                        ;     Child Loop BB47_183 Depth 2
	global_load_dwordx2 v[36:37], v[2:3], off offset:-16
	v_add_f64 v[34:35], v[32:33], v[28:29]
	s_waitcnt vmcnt(0)
	v_fma_f64 v[28:29], -v[28:29], v[36:37], v[30:31]
	v_add_f64 v[40:41], v[26:27], v[36:37]
	v_mul_f64 v[36:37], v[26:27], v[36:37]
	v_fma_f64 v[38:39], -v[26:27], v[32:33], v[28:29]
	v_mul_f64 v[28:29], v[34:35], v[36:37]
	v_mul_f64 v[36:37], v[30:31], v[36:37]
	v_mul_f64 v[32:33], v[36:37], -4.0
	v_fma_f64 v[28:29], v[30:31], v[40:41], -v[28:29]
	v_mul_f64 v[32:33], v[32:33], v[38:39]
	v_fmac_f64_e32 v[32:33], v[28:29], v[28:29]
	v_cmp_lt_f64_e64 vcc, |v[32:33]|, s[12:13]
	v_cndmask_b32_e64 v40, 0, 1, vcc
	v_lshlrev_b32_e32 v40, 8, v40
	v_ldexp_f64 v[32:33], |v[32:33]|, v40
	v_rsq_f64_e32 v[40:41], v[32:33]
	v_cndmask_b32_e32 v43, 0, v1, vcc
	v_cmp_class_f64_e32 vcc, v[32:33], v42
	v_mul_f64 v[44:45], v[32:33], v[40:41]
	v_mul_f64 v[40:41], v[40:41], 0.5
	v_fma_f64 v[46:47], -v[40:41], v[44:45], 0.5
	v_fmac_f64_e32 v[44:45], v[44:45], v[46:47]
	v_fmac_f64_e32 v[40:41], v[40:41], v[46:47]
	v_fma_f64 v[46:47], -v[44:45], v[44:45], v[32:33]
	v_fmac_f64_e32 v[44:45], v[46:47], v[40:41]
	v_fma_f64 v[46:47], -v[44:45], v[44:45], v[32:33]
	v_fmac_f64_e32 v[44:45], v[46:47], v[40:41]
	v_ldexp_f64 v[40:41], v[44:45], v43
	v_cndmask_b32_e32 v41, v41, v33, vcc
	v_cndmask_b32_e32 v40, v40, v32, vcc
	v_cmp_le_f64_e32 vcc, 0, v[28:29]
                                        ; implicit-def: $vgpr32_vgpr33
	s_and_saveexec_b64 s[2:3], vcc
	s_xor_b64 s[2:3], exec, s[2:3]
	s_cbranch_execz .LBB47_171
; %bb.170:                              ;   in Loop: Header=BB47_169 Depth=1
	v_add_f64 v[28:29], v[28:29], v[40:41]
	v_add_f64 v[32:33], v[38:39], v[38:39]
	v_div_scale_f64 v[36:37], s[14:15], v[32:33], v[32:33], v[28:29]
	v_rcp_f64_e32 v[38:39], v[36:37]
	v_fma_f64 v[40:41], -v[36:37], v[38:39], 1.0
	v_fmac_f64_e32 v[38:39], v[38:39], v[40:41]
	v_fma_f64 v[40:41], -v[36:37], v[38:39], 1.0
	v_fmac_f64_e32 v[38:39], v[38:39], v[40:41]
	v_div_scale_f64 v[40:41], vcc, v[28:29], v[32:33], v[28:29]
	v_mul_f64 v[44:45], v[40:41], v[38:39]
	v_fma_f64 v[36:37], -v[36:37], v[44:45], v[40:41]
                                        ; implicit-def: $vgpr40_vgpr41
	s_nop 1
	v_div_fmas_f64 v[36:37], v[36:37], v[38:39], v[44:45]
	v_div_fixup_f64 v[32:33], v[36:37], v[32:33], v[28:29]
                                        ; implicit-def: $vgpr36_vgpr37
                                        ; implicit-def: $vgpr28_vgpr29
.LBB47_171:                             ;   in Loop: Header=BB47_169 Depth=1
	s_andn2_saveexec_b64 s[2:3], s[2:3]
	s_cbranch_execz .LBB47_173
; %bb.172:                              ;   in Loop: Header=BB47_169 Depth=1
	v_add_f64 v[32:33], v[36:37], v[36:37]
	v_add_f64 v[28:29], v[28:29], -v[40:41]
	v_div_scale_f64 v[36:37], s[14:15], v[28:29], v[28:29], v[32:33]
	v_rcp_f64_e32 v[38:39], v[36:37]
	v_fma_f64 v[40:41], -v[36:37], v[38:39], 1.0
	v_fmac_f64_e32 v[38:39], v[38:39], v[40:41]
	v_fma_f64 v[40:41], -v[36:37], v[38:39], 1.0
	v_fmac_f64_e32 v[38:39], v[38:39], v[40:41]
	v_div_scale_f64 v[40:41], vcc, v[32:33], v[28:29], v[32:33]
	v_mul_f64 v[44:45], v[40:41], v[38:39]
	v_fma_f64 v[36:37], -v[36:37], v[44:45], v[40:41]
	s_nop 1
	v_div_fmas_f64 v[36:37], v[36:37], v[38:39], v[44:45]
	v_div_fixup_f64 v[32:33], v[36:37], v[28:29], v[32:33]
.LBB47_173:                             ;   in Loop: Header=BB47_169 Depth=1
	s_or_b64 exec, exec, s[2:3]
	v_mul_f64 v[28:29], v[30:31], v[32:33]
	v_cmp_lt_f64_e32 vcc, 0, v[28:29]
	s_and_saveexec_b64 s[2:3], vcc
; %bb.174:                              ;   in Loop: Header=BB47_169 Depth=1
	v_div_scale_f64 v[28:29], s[14:15], v[34:35], v[34:35], -v[30:31]
	v_rcp_f64_e32 v[32:33], v[28:29]
	v_div_scale_f64 v[36:37], vcc, -v[30:31], v[34:35], -v[30:31]
	v_fma_f64 v[38:39], -v[28:29], v[32:33], 1.0
	v_fmac_f64_e32 v[32:33], v[32:33], v[38:39]
	v_fma_f64 v[38:39], -v[28:29], v[32:33], 1.0
	v_fmac_f64_e32 v[32:33], v[32:33], v[38:39]
	v_mul_f64 v[38:39], v[36:37], v[32:33]
	v_fma_f64 v[28:29], -v[28:29], v[38:39], v[36:37]
	v_div_fmas_f64 v[28:29], v[28:29], v[32:33], v[38:39]
	v_div_fixup_f64 v[32:33], v[28:29], v[34:35], -v[30:31]
; %bb.175:                              ;   in Loop: Header=BB47_169 Depth=1
	s_or_b64 exec, exec, s[2:3]
	v_cmp_lt_f64_e32 vcc, v[22:23], v[20:21]
	v_cndmask_b32_e32 v28, v22, v20, vcc
	v_cndmask_b32_e32 v29, v23, v21, vcc
	v_cmp_nge_f64_e32 vcc, 0, v[30:31]
	v_cndmask_b32_e32 v23, v29, v23, vcc
	v_cndmask_b32_e32 v22, v28, v22, vcc
	v_cmp_lt_f64_e32 vcc, 0, v[30:31]
	v_cmp_lt_f64_e64 s[2:3], v[20:21], v[24:25]
	s_and_b64 vcc, vcc, s[2:3]
	v_cndmask_b32_e32 v25, v25, v21, vcc
	v_cndmask_b32_e32 v24, v24, v20, vcc
	v_add_f64 v[28:29], v[20:21], v[32:33]
	v_cmp_gt_f64_e32 vcc, v[28:29], v[24:25]
	v_cmp_lt_f64_e64 s[2:3], v[28:29], v[22:23]
	s_or_b64 s[14:15], vcc, s[2:3]
	s_and_saveexec_b64 s[2:3], s[14:15]
	s_cbranch_execz .LBB47_181
; %bb.176:                              ;   in Loop: Header=BB47_169 Depth=1
	v_cmp_ngt_f64_e32 vcc, 0, v[30:31]
                                        ; implicit-def: $vgpr32_vgpr33
	s_and_saveexec_b64 s[14:15], vcc
	s_xor_b64 s[14:15], exec, s[14:15]
; %bb.177:                              ;   in Loop: Header=BB47_169 Depth=1
	v_add_f64 v[28:29], v[22:23], -v[20:21]
	v_mul_f64 v[32:33], v[28:29], 0.5
; %bb.178:                              ;   in Loop: Header=BB47_169 Depth=1
	s_andn2_saveexec_b64 s[14:15], s[14:15]
; %bb.179:                              ;   in Loop: Header=BB47_169 Depth=1
	v_add_f64 v[28:29], v[24:25], -v[20:21]
	v_mul_f64 v[32:33], v[28:29], 0.5
; %bb.180:                              ;   in Loop: Header=BB47_169 Depth=1
	s_or_b64 exec, exec, s[14:15]
.LBB47_181:                             ;   in Loop: Header=BB47_169 Depth=1
	s_or_b64 exec, exec, s[2:3]
	v_pk_mov_b32 v[28:29], 0, 0
	v_pk_mov_b32 v[30:31], v[28:29], v[28:29] op_sel:[0,1]
	v_pk_mov_b32 v[34:35], v[28:29], v[28:29] op_sel:[0,1]
	s_and_saveexec_b64 s[2:3], s[0:1]
	s_cbranch_execz .LBB47_168
; %bb.182:                              ;   in Loop: Header=BB47_169 Depth=1
	v_pk_mov_b32 v[28:29], 0, 0
	s_mov_b64 s[14:15], 0
	v_pk_mov_b32 v[26:27], v[12:13], v[12:13] op_sel:[0,1]
	v_pk_mov_b32 v[36:37], v[8:9], v[8:9] op_sel:[0,1]
	v_mov_b32_e32 v38, v0
	v_pk_mov_b32 v[30:31], v[28:29], v[28:29] op_sel:[0,1]
	v_pk_mov_b32 v[34:35], v[28:29], v[28:29] op_sel:[0,1]
.LBB47_183:                             ;   Parent Loop BB47_169 Depth=1
                                        ; =>  This Inner Loop Header: Depth=2
	global_load_dwordx2 v[40:41], v[36:37], off
	v_add_u32_e32 v38, -1, v38
	v_cmp_eq_u32_e32 vcc, 0, v38
	s_or_b64 s[14:15], vcc, s[14:15]
	s_waitcnt vmcnt(0)
	v_add_f64 v[40:41], v[40:41], -v[32:33]
	global_store_dwordx2 v[36:37], v[40:41], off
	global_load_dwordx2 v[44:45], v[26:27], off
	v_add_co_u32_e32 v36, vcc, 8, v36
	v_addc_co_u32_e32 v37, vcc, 0, v37, vcc
	v_add_co_u32_e32 v26, vcc, 8, v26
	v_addc_co_u32_e32 v27, vcc, 0, v27, vcc
	s_waitcnt vmcnt(0)
	v_div_scale_f64 v[46:47], s[20:21], v[40:41], v[40:41], v[44:45]
	v_rcp_f64_e32 v[48:49], v[46:47]
	v_div_scale_f64 v[50:51], vcc, v[44:45], v[40:41], v[44:45]
	v_fma_f64 v[52:53], -v[46:47], v[48:49], 1.0
	v_fmac_f64_e32 v[48:49], v[48:49], v[52:53]
	v_fma_f64 v[52:53], -v[46:47], v[48:49], 1.0
	v_fmac_f64_e32 v[48:49], v[48:49], v[52:53]
	v_mul_f64 v[52:53], v[50:51], v[48:49]
	v_fma_f64 v[46:47], -v[46:47], v[52:53], v[50:51]
	v_div_fmas_f64 v[46:47], v[46:47], v[48:49], v[52:53]
	v_div_fixup_f64 v[40:41], v[46:47], v[40:41], v[44:45]
	v_fmac_f64_e32 v[34:35], v[44:45], v[40:41]
	v_fmac_f64_e32 v[28:29], v[40:41], v[40:41]
	v_add_f64 v[30:31], v[30:31], v[34:35]
	s_andn2_b64 exec, exec, s[14:15]
	s_cbranch_execnz .LBB47_183
; %bb.184:                              ;   in Loop: Header=BB47_169 Depth=1
	s_or_b64 exec, exec, s[14:15]
	global_load_dwordx2 v[26:27], v[10:11], off
	s_branch .LBB47_168
.LBB47_185:
	s_or_b64 exec, exec, s[10:11]
.LBB47_186:
	s_or_b64 exec, exec, s[8:9]
.LBB47_187:
	s_or_b64 exec, exec, s[6:7]
	v_add_f64 v[2:3], v[16:17], v[20:21]
.LBB47_188:
	s_or_b64 exec, exec, s[4:5]
	v_mov_b32_e32 v1, s40
	v_add_co_u32_e32 v0, vcc, s33, v4
	v_addc_co_u32_e32 v1, vcc, v1, v5, vcc
	s_waitcnt vmcnt(1)
	v_cmp_gt_f64_e32 vcc, 0, v[6:7]
	global_store_dwordx2 v[0:1], v[2:3], off
	s_and_b64 exec, exec, vcc
	s_cbranch_execz .LBB47_190
; %bb.189:
	v_xor_b32_e32 v3, 0x80000000, v3
	global_store_dwordx2 v[0:1], v[2:3], off
.LBB47_190:
	s_endpgm
	.section	.rodata,"a",@progbits
	.p2align	6, 0x0
	.amdhsa_kernel _ZN9rocsolver6v33100L30stedc_mergeValues_Solve_kernelIdEEviiPT_lS3_lS3_S3_PiS2_S2_S2_
		.amdhsa_group_segment_fixed_size 0
		.amdhsa_private_segment_fixed_size 0
		.amdhsa_kernarg_size 344
		.amdhsa_user_sgpr_count 6
		.amdhsa_user_sgpr_private_segment_buffer 1
		.amdhsa_user_sgpr_dispatch_ptr 0
		.amdhsa_user_sgpr_queue_ptr 0
		.amdhsa_user_sgpr_kernarg_segment_ptr 1
		.amdhsa_user_sgpr_dispatch_id 0
		.amdhsa_user_sgpr_flat_scratch_init 0
		.amdhsa_user_sgpr_kernarg_preload_length 0
		.amdhsa_user_sgpr_kernarg_preload_offset 0
		.amdhsa_user_sgpr_private_segment_size 0
		.amdhsa_uses_dynamic_stack 0
		.amdhsa_system_sgpr_private_segment_wavefront_offset 0
		.amdhsa_system_sgpr_workgroup_id_x 1
		.amdhsa_system_sgpr_workgroup_id_y 1
		.amdhsa_system_sgpr_workgroup_id_z 0
		.amdhsa_system_sgpr_workgroup_info 0
		.amdhsa_system_vgpr_workitem_id 0
		.amdhsa_next_free_vgpr 72
		.amdhsa_next_free_sgpr 42
		.amdhsa_accum_offset 72
		.amdhsa_reserve_vcc 1
		.amdhsa_reserve_flat_scratch 0
		.amdhsa_float_round_mode_32 0
		.amdhsa_float_round_mode_16_64 0
		.amdhsa_float_denorm_mode_32 3
		.amdhsa_float_denorm_mode_16_64 3
		.amdhsa_dx10_clamp 1
		.amdhsa_ieee_mode 1
		.amdhsa_fp16_overflow 0
		.amdhsa_tg_split 0
		.amdhsa_exception_fp_ieee_invalid_op 0
		.amdhsa_exception_fp_denorm_src 0
		.amdhsa_exception_fp_ieee_div_zero 0
		.amdhsa_exception_fp_ieee_overflow 0
		.amdhsa_exception_fp_ieee_underflow 0
		.amdhsa_exception_fp_ieee_inexact 0
		.amdhsa_exception_int_div_zero 0
	.end_amdhsa_kernel
	.section	.text._ZN9rocsolver6v33100L30stedc_mergeValues_Solve_kernelIdEEviiPT_lS3_lS3_S3_PiS2_S2_S2_,"axG",@progbits,_ZN9rocsolver6v33100L30stedc_mergeValues_Solve_kernelIdEEviiPT_lS3_lS3_S3_PiS2_S2_S2_,comdat
.Lfunc_end47:
	.size	_ZN9rocsolver6v33100L30stedc_mergeValues_Solve_kernelIdEEviiPT_lS3_lS3_S3_PiS2_S2_S2_, .Lfunc_end47-_ZN9rocsolver6v33100L30stedc_mergeValues_Solve_kernelIdEEviiPT_lS3_lS3_S3_PiS2_S2_S2_
                                        ; -- End function
	.section	.AMDGPU.csdata,"",@progbits
; Kernel info:
; codeLenInByte = 12600
; NumSgprs: 46
; NumVgprs: 72
; NumAgprs: 0
; TotalNumVgprs: 72
; ScratchSize: 0
; MemoryBound: 1
; FloatMode: 240
; IeeeMode: 1
; LDSByteSize: 0 bytes/workgroup (compile time only)
; SGPRBlocks: 5
; VGPRBlocks: 8
; NumSGPRsForWavesPerEU: 46
; NumVGPRsForWavesPerEU: 72
; AccumOffset: 72
; Occupancy: 7
; WaveLimiterHint : 1
; COMPUTE_PGM_RSRC2:SCRATCH_EN: 0
; COMPUTE_PGM_RSRC2:USER_SGPR: 6
; COMPUTE_PGM_RSRC2:TRAP_HANDLER: 0
; COMPUTE_PGM_RSRC2:TGID_X_EN: 1
; COMPUTE_PGM_RSRC2:TGID_Y_EN: 1
; COMPUTE_PGM_RSRC2:TGID_Z_EN: 0
; COMPUTE_PGM_RSRC2:TIDIG_COMP_CNT: 0
; COMPUTE_PGM_RSRC3_GFX90A:ACCUM_OFFSET: 17
; COMPUTE_PGM_RSRC3_GFX90A:TG_SPLIT: 0
	.section	.text._ZN9rocsolver6v33100L32stedc_mergeValues_Rescale_kernelIdEEviiPT_lS3_lS3_S3_PiS2_S2_S2_,"axG",@progbits,_ZN9rocsolver6v33100L32stedc_mergeValues_Rescale_kernelIdEEviiPT_lS3_lS3_S3_PiS2_S2_S2_,comdat
	.globl	_ZN9rocsolver6v33100L32stedc_mergeValues_Rescale_kernelIdEEviiPT_lS3_lS3_S3_PiS2_S2_S2_ ; -- Begin function _ZN9rocsolver6v33100L32stedc_mergeValues_Rescale_kernelIdEEviiPT_lS3_lS3_S3_PiS2_S2_S2_
	.p2align	8
	.type	_ZN9rocsolver6v33100L32stedc_mergeValues_Rescale_kernelIdEEviiPT_lS3_lS3_S3_PiS2_S2_S2_,@function
_ZN9rocsolver6v33100L32stedc_mergeValues_Rescale_kernelIdEEviiPT_lS3_lS3_S3_PiS2_S2_S2_: ; @_ZN9rocsolver6v33100L32stedc_mergeValues_Rescale_kernelIdEEviiPT_lS3_lS3_S3_PiS2_S2_S2_
; %bb.0:
	s_load_dword s2, s[4:5], 0x4
	s_load_dwordx2 s[8:9], s[4:5], 0x38
	s_mov_b32 s0, s7
	s_waitcnt lgkmcnt(0)
	s_mul_i32 s16, s7, s2
	s_mul_i32 s10, s16, 13
	s_ashr_i32 s11, s10, 31
	s_ashr_i32 s3, s2, 31
	s_lshl_b64 s[10:11], s[10:11], 2
	s_add_u32 s1, s8, s10
	s_mul_i32 s8, s2, 6
	s_addc_u32 s7, s9, s11
	s_ashr_i32 s9, s8, 31
	s_lshl_b64 s[8:9], s[8:9], 2
	s_add_u32 s1, s1, s8
	s_addc_u32 s12, s7, s9
	s_ashr_i32 s7, s6, 31
	s_lshl_b64 s[8:9], s[2:3], 2
	s_lshl_b64 s[10:11], s[6:7], 2
	s_add_u32 s10, s1, s10
	s_addc_u32 s11, s12, s11
	s_add_u32 s8, s10, s8
	s_addc_u32 s9, s11, s9
	s_load_dword s3, s[10:11], 0x0
	s_load_dword s17, s[8:9], 0x0
	s_waitcnt lgkmcnt(0)
	s_sub_i32 s1, s6, s3
	s_cmp_ge_i32 s1, s17
	s_cbranch_scc1 .LBB48_17
; %bb.1:
	s_load_dwordx4 s[8:11], s[4:5], 0x28
	v_cmp_le_i32_e32 vcc, s17, v0
                                        ; implicit-def: $sgpr14_sgpr15
                                        ; implicit-def: $sgpr1
	s_and_saveexec_b64 s[12:13], vcc
	s_xor_b64 s[12:13], exec, s[12:13]
	s_cbranch_execz .LBB48_3
; %bb.2:
	s_load_dword s1, s[4:5], 0x64
	s_mov_b64 s[14:15], 1.0
.LBB48_3:
	s_or_saveexec_b64 s[12:13], s[12:13]
	v_pk_mov_b32 v[2:3], s[14:15], s[14:15] op_sel:[0,1]
	s_waitcnt lgkmcnt(0)
	v_mov_b32_e32 v4, s1
	s_xor_b64 exec, exec, s[12:13]
	s_cbranch_execz .LBB48_9
; %bb.4:
	s_load_dwordx4 s[20:23], s[4:5], 0x8
	s_load_dword s14, s[4:5], 0x64
	s_ashr_i32 s1, s0, 31
	v_add_u32_e32 v1, s3, v0
	v_mul_lo_u32 v1, s2, v1
	s_waitcnt lgkmcnt(0)
	s_mul_i32 s4, s0, s23
	s_mul_hi_u32 s5, s0, s22
	s_mul_i32 s1, s1, s22
	s_add_i32 s4, s5, s4
	s_add_i32 s1, s4, s1
	s_mul_i32 s0, s0, s22
	s_lshl_b64 s[0:1], s[0:1], 3
	s_add_u32 s15, s20, s0
	s_mul_i32 s0, s16, s2
	s_addc_u32 s18, s21, s1
	s_lshl_b32 s0, s0, 1
	s_ashr_i32 s1, s0, 31
	s_lshl_b64 s[0:1], s[0:1], 3
	s_add_u32 s4, s10, s0
	s_addc_u32 s5, s11, s1
	s_mul_i32 s0, s2, s2
	s_mov_b32 s1, 0
	s_lshl_b64 s[0:1], s[0:1], 3
	s_add_u32 s19, s4, s0
	s_addc_u32 s10, s5, s1
	s_lshl_b64 s[0:1], s[6:7], 3
	s_add_u32 s0, s15, s0
	s_addc_u32 s1, s18, s1
	s_and_b32 s20, s14, 0xffff
	v_add_u32_e32 v1, s6, v1
	v_mov_b32_e32 v2, 0
	s_sub_i32 s21, s3, s6
	v_subrev_u32_e32 v4, s3, v1
	s_mul_i32 s22, s2, s20
	s_mov_b64 s[4:5], 0
	v_mov_b32_e32 v3, 0x3ff00000
	v_mov_b32_e32 v1, s10
	v_mov_b32_e32 v8, v0
	s_branch .LBB48_6
.LBB48_5:                               ;   in Loop: Header=BB48_6 Depth=1
	s_or_b64 exec, exec, s[10:11]
	v_add_u32_e32 v8, s20, v8
	v_cmp_le_i32_e32 vcc, s17, v8
	s_waitcnt vmcnt(0)
	v_mul_f64 v[2:3], v[2:3], v[6:7]
	s_or_b64 s[4:5], vcc, s[4:5]
	v_add_u32_e32 v4, s22, v4
	s_andn2_b64 exec, exec, s[4:5]
	s_cbranch_execz .LBB48_8
.LBB48_6:                               ; =>This Inner Loop Header: Depth=1
	v_ashrrev_i32_e32 v5, 31, v4
	v_lshlrev_b64 v[6:7], 3, v[4:5]
	v_add_co_u32_e32 v6, vcc, s19, v6
	v_addc_co_u32_e32 v7, vcc, v1, v7, vcc
	global_load_dwordx2 v[6:7], v[6:7], off
	v_add_u32_e32 v5, s21, v8
	v_cmp_ne_u32_e32 vcc, 0, v5
	s_and_saveexec_b64 s[10:11], vcc
	s_cbranch_execz .LBB48_5
; %bb.7:                                ;   in Loop: Header=BB48_6 Depth=1
	v_add_u32_e32 v10, s3, v8
	v_ashrrev_i32_e32 v11, 31, v10
	v_lshlrev_b64 v[10:11], 3, v[10:11]
	v_mov_b32_e32 v5, s18
	v_add_co_u32_e32 v10, vcc, s15, v10
	v_addc_co_u32_e32 v11, vcc, v5, v11, vcc
	global_load_dwordx2 v[10:11], v[10:11], off
	s_load_dwordx2 s[24:25], s[0:1], 0x0
	s_waitcnt vmcnt(0) lgkmcnt(0)
	v_add_f64 v[10:11], s[24:25], -v[10:11]
	v_div_scale_f64 v[12:13], s[24:25], v[10:11], v[10:11], v[6:7]
	v_rcp_f64_e32 v[14:15], v[12:13]
	v_div_scale_f64 v[16:17], vcc, v[6:7], v[10:11], v[6:7]
	v_fma_f64 v[18:19], -v[12:13], v[14:15], 1.0
	v_fmac_f64_e32 v[14:15], v[14:15], v[18:19]
	v_fma_f64 v[18:19], -v[12:13], v[14:15], 1.0
	v_fmac_f64_e32 v[14:15], v[14:15], v[18:19]
	v_mul_f64 v[18:19], v[16:17], v[14:15]
	v_fma_f64 v[12:13], -v[12:13], v[18:19], v[16:17]
	v_div_fmas_f64 v[12:13], v[12:13], v[14:15], v[18:19]
	v_div_fixup_f64 v[6:7], v[12:13], v[10:11], v[6:7]
	s_branch .LBB48_5
.LBB48_8:
	s_or_b64 exec, exec, s[4:5]
	v_mov_b32_e32 v4, s14
.LBB48_9:
	s_or_b64 exec, exec, s[12:13]
	v_lshlrev_b32_e32 v1, 3, v0
	v_cmp_lt_u16_e32 vcc, 1, v4
	ds_write_b64 v1, v[2:3]
	s_waitcnt lgkmcnt(0)
	s_barrier
	s_and_saveexec_b64 s[0:1], vcc
	s_cbranch_execz .LBB48_15
; %bb.10:
	v_lshrrev_b16_e32 v4, 1, v4
	s_mov_b64 s[4:5], 0
	s_branch .LBB48_12
.LBB48_11:                              ;   in Loop: Header=BB48_12 Depth=1
	s_or_b64 exec, exec, s[10:11]
	v_lshrrev_b32_e32 v5, 1, v4
	v_cmp_gt_u32_e32 vcc, 2, v4
	s_or_b64 s[4:5], vcc, s[4:5]
	v_mov_b32_e32 v4, v5
	s_waitcnt lgkmcnt(0)
	s_barrier
	s_andn2_b64 exec, exec, s[4:5]
	s_cbranch_execz .LBB48_14
.LBB48_12:                              ; =>This Inner Loop Header: Depth=1
	v_cmp_lt_u32_e32 vcc, v0, v4
	s_and_saveexec_b64 s[10:11], vcc
	s_cbranch_execz .LBB48_11
; %bb.13:                               ;   in Loop: Header=BB48_12 Depth=1
	v_lshl_add_u32 v5, v4, 3, v1
	ds_read_b64 v[6:7], v5
	s_waitcnt lgkmcnt(0)
	v_mul_f64 v[2:3], v[2:3], v[6:7]
	ds_write_b64 v1, v[2:3]
	s_branch .LBB48_11
.LBB48_14:
	s_or_b64 exec, exec, s[4:5]
.LBB48_15:
	s_or_b64 exec, exec, s[0:1]
	v_cmp_eq_u32_e32 vcc, 0, v0
	s_and_saveexec_b64 s[0:1], vcc
	s_cbranch_execz .LBB48_17
; %bb.16:
	s_mul_i32 s0, s16, 10
	s_ashr_i32 s1, s0, 31
	s_lshl_b64 s[0:1], s[0:1], 3
	s_add_u32 s4, s8, s0
	s_addc_u32 s5, s9, s1
	s_lshl_b32 s0, s2, 3
	s_mov_b32 s2, 0
	s_brev_b32 s3, 8
	v_cmp_lt_f64_e64 vcc, |v[2:3]|, s[2:3]
	v_cndmask_b32_e64 v0, 0, 1, vcc
	v_lshlrev_b32_e32 v0, 8, v0
	v_ldexp_f64 v[0:1], |v[2:3]|, v0
	v_rsq_f64_e32 v[2:3], v[0:1]
	s_ashr_i32 s1, s0, 31
	s_lshl_b64 s[0:1], s[0:1], 3
	s_add_u32 s2, s4, s0
	v_mul_f64 v[4:5], v[0:1], v[2:3]
	v_mul_f64 v[2:3], v[2:3], 0.5
	v_fma_f64 v[6:7], -v[2:3], v[4:5], 0.5
	v_fmac_f64_e32 v[4:5], v[4:5], v[6:7]
	s_addc_u32 s3, s5, s1
	v_fma_f64 v[8:9], -v[4:5], v[4:5], v[0:1]
	v_fmac_f64_e32 v[2:3], v[2:3], v[6:7]
	s_lshl_b64 s[0:1], s[6:7], 3
	v_fmac_f64_e32 v[4:5], v[8:9], v[2:3]
	s_add_u32 s0, s2, s0
	v_fma_f64 v[6:7], -v[4:5], v[4:5], v[0:1]
	s_addc_u32 s1, s3, s1
	v_fmac_f64_e32 v[4:5], v[6:7], v[2:3]
	v_mov_b32_e32 v2, 0xffffff80
	s_load_dwordx2 s[2:3], s[0:1], 0x0
	v_cndmask_b32_e32 v2, 0, v2, vcc
	v_ldexp_f64 v[2:3], v[4:5], v2
	v_mov_b32_e32 v4, 0x260
	v_cmp_class_f64_e32 vcc, v[0:1], v4
	v_cndmask_b32_e32 v1, v3, v1, vcc
	v_cndmask_b32_e32 v0, v2, v0, vcc
	v_xor_b32_e32 v2, 0x80000000, v1
	s_waitcnt lgkmcnt(0)
	v_cmp_lt_f64_e64 vcc, s[2:3], 0
	v_mov_b32_e32 v3, 0
	v_cndmask_b32_e32 v1, v1, v2, vcc
	global_store_dwordx2 v3, v[0:1], s[0:1]
.LBB48_17:
	s_endpgm
	.section	.rodata,"a",@progbits
	.p2align	6, 0x0
	.amdhsa_kernel _ZN9rocsolver6v33100L32stedc_mergeValues_Rescale_kernelIdEEviiPT_lS3_lS3_S3_PiS2_S2_S2_
		.amdhsa_group_segment_fixed_size 4096
		.amdhsa_private_segment_fixed_size 0
		.amdhsa_kernarg_size 344
		.amdhsa_user_sgpr_count 6
		.amdhsa_user_sgpr_private_segment_buffer 1
		.amdhsa_user_sgpr_dispatch_ptr 0
		.amdhsa_user_sgpr_queue_ptr 0
		.amdhsa_user_sgpr_kernarg_segment_ptr 1
		.amdhsa_user_sgpr_dispatch_id 0
		.amdhsa_user_sgpr_flat_scratch_init 0
		.amdhsa_user_sgpr_kernarg_preload_length 0
		.amdhsa_user_sgpr_kernarg_preload_offset 0
		.amdhsa_user_sgpr_private_segment_size 0
		.amdhsa_uses_dynamic_stack 0
		.amdhsa_system_sgpr_private_segment_wavefront_offset 0
		.amdhsa_system_sgpr_workgroup_id_x 1
		.amdhsa_system_sgpr_workgroup_id_y 1
		.amdhsa_system_sgpr_workgroup_id_z 0
		.amdhsa_system_sgpr_workgroup_info 0
		.amdhsa_system_vgpr_workitem_id 0
		.amdhsa_next_free_vgpr 20
		.amdhsa_next_free_sgpr 26
		.amdhsa_accum_offset 20
		.amdhsa_reserve_vcc 1
		.amdhsa_reserve_flat_scratch 0
		.amdhsa_float_round_mode_32 0
		.amdhsa_float_round_mode_16_64 0
		.amdhsa_float_denorm_mode_32 3
		.amdhsa_float_denorm_mode_16_64 3
		.amdhsa_dx10_clamp 1
		.amdhsa_ieee_mode 1
		.amdhsa_fp16_overflow 0
		.amdhsa_tg_split 0
		.amdhsa_exception_fp_ieee_invalid_op 0
		.amdhsa_exception_fp_denorm_src 0
		.amdhsa_exception_fp_ieee_div_zero 0
		.amdhsa_exception_fp_ieee_overflow 0
		.amdhsa_exception_fp_ieee_underflow 0
		.amdhsa_exception_fp_ieee_inexact 0
		.amdhsa_exception_int_div_zero 0
	.end_amdhsa_kernel
	.section	.text._ZN9rocsolver6v33100L32stedc_mergeValues_Rescale_kernelIdEEviiPT_lS3_lS3_S3_PiS2_S2_S2_,"axG",@progbits,_ZN9rocsolver6v33100L32stedc_mergeValues_Rescale_kernelIdEEviiPT_lS3_lS3_S3_PiS2_S2_S2_,comdat
.Lfunc_end48:
	.size	_ZN9rocsolver6v33100L32stedc_mergeValues_Rescale_kernelIdEEviiPT_lS3_lS3_S3_PiS2_S2_S2_, .Lfunc_end48-_ZN9rocsolver6v33100L32stedc_mergeValues_Rescale_kernelIdEEviiPT_lS3_lS3_S3_PiS2_S2_S2_
                                        ; -- End function
	.section	.AMDGPU.csdata,"",@progbits
; Kernel info:
; codeLenInByte = 996
; NumSgprs: 30
; NumVgprs: 20
; NumAgprs: 0
; TotalNumVgprs: 20
; ScratchSize: 0
; MemoryBound: 0
; FloatMode: 240
; IeeeMode: 1
; LDSByteSize: 4096 bytes/workgroup (compile time only)
; SGPRBlocks: 3
; VGPRBlocks: 2
; NumSGPRsForWavesPerEU: 30
; NumVGPRsForWavesPerEU: 20
; AccumOffset: 20
; Occupancy: 8
; WaveLimiterHint : 1
; COMPUTE_PGM_RSRC2:SCRATCH_EN: 0
; COMPUTE_PGM_RSRC2:USER_SGPR: 6
; COMPUTE_PGM_RSRC2:TRAP_HANDLER: 0
; COMPUTE_PGM_RSRC2:TGID_X_EN: 1
; COMPUTE_PGM_RSRC2:TGID_Y_EN: 1
; COMPUTE_PGM_RSRC2:TGID_Z_EN: 0
; COMPUTE_PGM_RSRC2:TIDIG_COMP_CNT: 0
; COMPUTE_PGM_RSRC3_GFX90A:ACCUM_OFFSET: 4
; COMPUTE_PGM_RSRC3_GFX90A:TG_SPLIT: 0
	.section	.text._ZN9rocsolver6v33100L25stedc_mergeVectors_kernelILb1EdEEviiPT0_iilS3_S3_Pi,"axG",@progbits,_ZN9rocsolver6v33100L25stedc_mergeVectors_kernelILb1EdEEviiPT0_iilS3_S3_Pi,comdat
	.globl	_ZN9rocsolver6v33100L25stedc_mergeVectors_kernelILb1EdEEviiPT0_iilS3_S3_Pi ; -- Begin function _ZN9rocsolver6v33100L25stedc_mergeVectors_kernelILb1EdEEviiPT0_iilS3_S3_Pi
	.p2align	8
	.type	_ZN9rocsolver6v33100L25stedc_mergeVectors_kernelILb1EdEEviiPT0_iilS3_S3_Pi,@function
_ZN9rocsolver6v33100L25stedc_mergeVectors_kernelILb1EdEEviiPT0_iilS3_S3_Pi: ; @_ZN9rocsolver6v33100L25stedc_mergeVectors_kernelILb1EdEEviiPT0_iilS3_S3_Pi
; %bb.0:
	s_load_dword s8, s[4:5], 0x4
	s_load_dword s12, s[4:5], 0x44
	s_load_dwordx2 s[10:11], s[4:5], 0x30
	s_load_dwordx4 s[0:3], s[4:5], 0x20
	s_waitcnt lgkmcnt(0)
	s_mul_i32 s16, s7, s8
	s_mul_i32 s4, s16, 13
	s_ashr_i32 s5, s4, 31
	s_ashr_i32 s9, s8, 31
	s_and_b32 s20, s12, 0xffff
	s_lshl_b64 s[4:5], s[4:5], 2
	s_add_u32 s7, s10, s4
	s_mul_i32 s4, s8, 5
	s_addc_u32 s10, s11, s5
	s_ashr_i32 s5, s4, 31
	s_lshl_b64 s[4:5], s[4:5], 2
	s_add_u32 s17, s7, s4
	s_mul_i32 s4, s16, s8
	s_addc_u32 s18, s10, s5
	s_lshl_b32 s4, s4, 1
	s_ashr_i32 s7, s6, 31
	s_lshl_b64 s[12:13], s[8:9], 2
	s_ashr_i32 s5, s4, 31
	s_lshl_b64 s[14:15], s[6:7], 2
	s_add_u32 s14, s17, s14
	s_addc_u32 s15, s18, s15
	s_add_u32 s18, s14, s12
	s_addc_u32 s19, s15, s13
	;; [unrolled: 2-line block ×3, first 2 shown]
	s_load_dword s9, s[12:13], 0x0
	s_load_dword s21, s[18:19], 0x0
	;; [unrolled: 1-line block ×3, first 2 shown]
	s_mul_i32 s10, s8, s8
	s_mov_b32 s11, 0
	s_waitcnt lgkmcnt(0)
	s_sub_i32 s12, s6, s21
	s_cmp_ge_i32 s12, s9
	s_cselect_b64 s[12:13], -1, 0
	s_and_b64 vcc, exec, s[12:13]
	s_barrier
	s_cbranch_vccnz .LBB49_10
; %bb.1:
	v_cmp_gt_i32_e32 vcc, s9, v0
	v_pk_mov_b32 v[2:3], 0, 0
	s_and_saveexec_b64 s[14:15], vcc
	s_cbranch_execz .LBB49_5
; %bb.2:
	s_mul_i32 s24, s6, s8
	v_add_u32_e32 v2, s24, v0
	v_ashrrev_i32_e32 v3, 31, v2
	s_mul_i32 s16, s16, 10
	s_lshl_b32 s18, s8, 3
	s_lshl_b64 s[22:23], s[4:5], 3
	v_lshlrev_b64 v[2:3], 3, v[2:3]
	s_ashr_i32 s17, s16, 31
	s_ashr_i32 s19, s18, 31
	v_mov_b32_e32 v1, s23
	v_add_co_u32_e32 v2, vcc, s22, v2
	s_lshl_b64 s[22:23], s[10:11], 3
	s_add_u32 s22, s2, s22
	v_addc_co_u32_e32 v3, vcc, v1, v3, vcc
	s_addc_u32 s23, s3, s23
	v_mov_b32_e32 v4, s23
	v_add_co_u32_e32 v1, vcc, s22, v2
	s_lshl_b32 s22, s20, 3
	s_lshl_b64 s[16:17], s[16:17], 3
	s_lshl_b64 s[18:19], s[18:19], 3
	v_addc_co_u32_e32 v4, vcc, v4, v3, vcc
	s_add_u32 s16, s16, s18
	v_mov_b32_e32 v6, s3
	v_add_co_u32_e32 v5, vcc, s2, v2
	s_addc_u32 s17, s17, s19
	v_add_u32_e32 v2, s21, v0
	v_addc_co_u32_e32 v6, vcc, v6, v3, vcc
	v_ashrrev_i32_e32 v3, 31, v2
	s_add_u32 s0, s0, s16
	v_lshlrev_b64 v[2:3], 3, v[2:3]
	s_addc_u32 s1, s1, s17
	v_mov_b32_e32 v8, s1
	v_add_co_u32_e32 v7, vcc, s0, v2
	v_addc_co_u32_e32 v8, vcc, v8, v3, vcc
	s_mov_b64 s[16:17], 0
	v_pk_mov_b32 v[2:3], 0, 0
	s_mov_b64 s[18:19], 0
	v_mov_b32_e32 v9, v0
.LBB49_3:                               ; =>This Inner Loop Header: Depth=1
	v_mov_b32_e32 v18, s19
	v_add_co_u32_e64 v12, s[0:1], s18, v7
	v_add_co_u32_e32 v10, vcc, s18, v1
	v_addc_co_u32_e64 v13, s[0:1], v8, v18, s[0:1]
	v_addc_co_u32_e32 v11, vcc, v4, v18, vcc
	global_load_dwordx2 v[14:15], v[12:13], off
	global_load_dwordx2 v[16:17], v[10:11], off
	v_add_co_u32_e32 v10, vcc, s18, v5
	v_addc_co_u32_e32 v11, vcc, v6, v18, vcc
	v_add_u32_e32 v9, s20, v9
	s_add_u32 s18, s18, s22
	s_addc_u32 s19, s19, 0
	v_cmp_le_i32_e32 vcc, s9, v9
	s_or_b64 s[16:17], vcc, s[16:17]
	s_waitcnt vmcnt(0)
	v_div_scale_f64 v[12:13], s[0:1], v[16:17], v[16:17], v[14:15]
	v_rcp_f64_e32 v[18:19], v[12:13]
	v_div_scale_f64 v[20:21], vcc, v[14:15], v[16:17], v[14:15]
	v_fma_f64 v[22:23], -v[12:13], v[18:19], 1.0
	v_fmac_f64_e32 v[18:19], v[18:19], v[22:23]
	v_fma_f64 v[22:23], -v[12:13], v[18:19], 1.0
	v_fmac_f64_e32 v[18:19], v[18:19], v[22:23]
	v_mul_f64 v[22:23], v[20:21], v[18:19]
	v_fma_f64 v[12:13], -v[12:13], v[22:23], v[20:21]
	v_div_fmas_f64 v[12:13], v[12:13], v[18:19], v[22:23]
	v_div_fixup_f64 v[12:13], v[12:13], v[16:17], v[14:15]
	v_fmac_f64_e32 v[2:3], v[12:13], v[12:13]
	global_store_dwordx2 v[10:11], v[12:13], off
	s_andn2_b64 exec, exec, s[16:17]
	s_cbranch_execnz .LBB49_3
; %bb.4:
	s_or_b64 exec, exec, s[16:17]
.LBB49_5:
	s_or_b64 exec, exec, s[14:15]
	v_lshlrev_b32_e32 v1, 3, v0
	s_cmp_lt_u32 s20, 2
	ds_write_b64 v1, v[2:3]
	s_cbranch_scc1 .LBB49_11
; %bb.6:
	s_mov_b32 s14, s20
	s_branch .LBB49_8
.LBB49_7:                               ;   in Loop: Header=BB49_8 Depth=1
	s_or_b64 exec, exec, s[0:1]
	s_cmp_lt_u32 s14, 4
	s_mov_b32 s14, s15
	s_cbranch_scc1 .LBB49_11
.LBB49_8:                               ; =>This Inner Loop Header: Depth=1
	s_lshr_b32 s15, s14, 1
	v_cmp_gt_u32_e32 vcc, s15, v0
	s_waitcnt lgkmcnt(0)
	s_barrier
	s_and_saveexec_b64 s[0:1], vcc
	s_cbranch_execz .LBB49_7
; %bb.9:                                ;   in Loop: Header=BB49_8 Depth=1
	v_lshl_add_u32 v4, s15, 3, v1
	ds_read_b64 v[4:5], v4
	s_waitcnt lgkmcnt(0)
	v_add_f64 v[2:3], v[2:3], v[4:5]
	ds_write_b64 v1, v[2:3]
	s_branch .LBB49_7
.LBB49_10:
                                        ; implicit-def: $vgpr2_vgpr3
	s_add_i32 s14, s7, s21
	v_cmp_gt_i32_e32 vcc, s14, v0
	s_and_saveexec_b64 s[0:1], vcc
	s_cbranch_execnz .LBB49_12
	s_branch .LBB49_18
.LBB49_11:
	v_mov_b32_e32 v1, 0
	s_waitcnt lgkmcnt(0)
	s_barrier
	ds_read_b64 v[2:3], v1
	s_mov_b32 s0, 0
	s_brev_b32 s1, 8
	s_waitcnt lgkmcnt(0)
	v_cmp_gt_f64_e32 vcc, s[0:1], v[2:3]
	v_cndmask_b32_e64 v1, 0, 1, vcc
	v_lshlrev_b32_e32 v1, 8, v1
	v_ldexp_f64 v[2:3], v[2:3], v1
	v_rsq_f64_e32 v[4:5], v[2:3]
	s_and_b64 s[0:1], vcc, exec
	s_cselect_b32 s0, 0xffffff80, 0
	v_mov_b32_e32 v1, 0x260
	v_mul_f64 v[6:7], v[2:3], v[4:5]
	v_mul_f64 v[4:5], v[4:5], 0.5
	v_fma_f64 v[8:9], -v[4:5], v[6:7], 0.5
	v_fmac_f64_e32 v[6:7], v[6:7], v[8:9]
	v_fma_f64 v[10:11], -v[6:7], v[6:7], v[2:3]
	v_fmac_f64_e32 v[4:5], v[4:5], v[8:9]
	v_fmac_f64_e32 v[6:7], v[10:11], v[4:5]
	v_fma_f64 v[8:9], -v[6:7], v[6:7], v[2:3]
	v_fmac_f64_e32 v[6:7], v[8:9], v[4:5]
	v_ldexp_f64 v[4:5], v[6:7], s0
	v_cmp_class_f64_e32 vcc, v[2:3], v1
	v_cndmask_b32_e32 v3, v5, v3, vcc
	v_cndmask_b32_e32 v2, v4, v2, vcc
	s_add_i32 s14, s7, s21
	v_cmp_gt_i32_e32 vcc, s14, v0
	s_and_saveexec_b64 s[0:1], vcc
	s_cbranch_execz .LBB49_18
.LBB49_12:
	s_lshl_b64 s[0:1], s[4:5], 3
	s_add_u32 s15, s2, s0
	s_addc_u32 s16, s3, s1
	s_lshl_b64 s[0:1], s[10:11], 3
	s_add_u32 s10, s15, s0
	s_addc_u32 s4, s16, s1
	s_mul_i32 s8, s6, s8
	s_sub_i32 s11, 0, s21
	s_sub_i32 s17, s8, s21
	s_mov_b64 s[0:1], 0
	s_xor_b64 s[2:3], s[12:13], -1
	v_mov_b32_e32 v1, s4
	s_branch .LBB49_15
.LBB49_13:                              ;   in Loop: Header=BB49_15 Depth=1
	s_or_b64 exec, exec, s[6:7]
.LBB49_14:                              ;   in Loop: Header=BB49_15 Depth=1
	s_or_b64 exec, exec, s[4:5]
	v_add_u32_e32 v6, s8, v0
	v_ashrrev_i32_e32 v7, 31, v6
	v_lshlrev_b64 v[6:7], 3, v[6:7]
	v_add_co_u32_e32 v6, vcc, s10, v6
	v_addc_co_u32_e32 v7, vcc, v1, v7, vcc
	v_add_u32_e32 v0, s20, v0
	v_cmp_le_i32_e32 vcc, s14, v0
	s_or_b64 s[0:1], vcc, s[0:1]
	global_store_dwordx2 v[6:7], v[4:5], off
	s_andn2_b64 exec, exec, s[0:1]
	s_cbranch_execz .LBB49_18
.LBB49_15:                              ; =>This Inner Loop Header: Depth=1
	v_cmp_le_i32_e32 vcc, s21, v0
	s_and_b64 s[6:7], s[2:3], vcc
	v_pk_mov_b32 v[4:5], 0, 0
	s_and_saveexec_b64 s[4:5], s[6:7]
	s_cbranch_execz .LBB49_14
; %bb.16:                               ;   in Loop: Header=BB49_15 Depth=1
	v_add_u32_e32 v4, s11, v0
	v_cmp_gt_i32_e32 vcc, s9, v4
	v_pk_mov_b32 v[4:5], 0, 0
	s_and_saveexec_b64 s[6:7], vcc
	s_cbranch_execz .LBB49_13
; %bb.17:                               ;   in Loop: Header=BB49_15 Depth=1
	v_add_u32_e32 v4, s17, v0
	v_ashrrev_i32_e32 v5, 31, v4
	v_lshlrev_b64 v[4:5], 3, v[4:5]
	v_mov_b32_e32 v6, s16
	v_add_co_u32_e32 v4, vcc, s15, v4
	v_addc_co_u32_e32 v5, vcc, v6, v5, vcc
	global_load_dwordx2 v[4:5], v[4:5], off
	s_waitcnt vmcnt(0)
	v_div_scale_f64 v[6:7], s[12:13], v[2:3], v[2:3], v[4:5]
	v_rcp_f64_e32 v[8:9], v[6:7]
	v_div_scale_f64 v[10:11], vcc, v[4:5], v[2:3], v[4:5]
	v_fma_f64 v[12:13], -v[6:7], v[8:9], 1.0
	v_fmac_f64_e32 v[8:9], v[8:9], v[12:13]
	v_fma_f64 v[12:13], -v[6:7], v[8:9], 1.0
	v_fmac_f64_e32 v[8:9], v[8:9], v[12:13]
	v_mul_f64 v[12:13], v[10:11], v[8:9]
	v_fma_f64 v[6:7], -v[6:7], v[12:13], v[10:11]
	v_div_fmas_f64 v[6:7], v[6:7], v[8:9], v[12:13]
	v_div_fixup_f64 v[4:5], v[6:7], v[2:3], v[4:5]
	s_branch .LBB49_13
.LBB49_18:
	s_endpgm
	.section	.rodata,"a",@progbits
	.p2align	6, 0x0
	.amdhsa_kernel _ZN9rocsolver6v33100L25stedc_mergeVectors_kernelILb1EdEEviiPT0_iilS3_S3_Pi
		.amdhsa_group_segment_fixed_size 4096
		.amdhsa_private_segment_fixed_size 0
		.amdhsa_kernarg_size 312
		.amdhsa_user_sgpr_count 6
		.amdhsa_user_sgpr_private_segment_buffer 1
		.amdhsa_user_sgpr_dispatch_ptr 0
		.amdhsa_user_sgpr_queue_ptr 0
		.amdhsa_user_sgpr_kernarg_segment_ptr 1
		.amdhsa_user_sgpr_dispatch_id 0
		.amdhsa_user_sgpr_flat_scratch_init 0
		.amdhsa_user_sgpr_kernarg_preload_length 0
		.amdhsa_user_sgpr_kernarg_preload_offset 0
		.amdhsa_user_sgpr_private_segment_size 0
		.amdhsa_uses_dynamic_stack 0
		.amdhsa_system_sgpr_private_segment_wavefront_offset 0
		.amdhsa_system_sgpr_workgroup_id_x 1
		.amdhsa_system_sgpr_workgroup_id_y 1
		.amdhsa_system_sgpr_workgroup_id_z 0
		.amdhsa_system_sgpr_workgroup_info 0
		.amdhsa_system_vgpr_workitem_id 0
		.amdhsa_next_free_vgpr 24
		.amdhsa_next_free_sgpr 25
		.amdhsa_accum_offset 24
		.amdhsa_reserve_vcc 1
		.amdhsa_reserve_flat_scratch 0
		.amdhsa_float_round_mode_32 0
		.amdhsa_float_round_mode_16_64 0
		.amdhsa_float_denorm_mode_32 3
		.amdhsa_float_denorm_mode_16_64 3
		.amdhsa_dx10_clamp 1
		.amdhsa_ieee_mode 1
		.amdhsa_fp16_overflow 0
		.amdhsa_tg_split 0
		.amdhsa_exception_fp_ieee_invalid_op 0
		.amdhsa_exception_fp_denorm_src 0
		.amdhsa_exception_fp_ieee_div_zero 0
		.amdhsa_exception_fp_ieee_overflow 0
		.amdhsa_exception_fp_ieee_underflow 0
		.amdhsa_exception_fp_ieee_inexact 0
		.amdhsa_exception_int_div_zero 0
	.end_amdhsa_kernel
	.section	.text._ZN9rocsolver6v33100L25stedc_mergeVectors_kernelILb1EdEEviiPT0_iilS3_S3_Pi,"axG",@progbits,_ZN9rocsolver6v33100L25stedc_mergeVectors_kernelILb1EdEEviiPT0_iilS3_S3_Pi,comdat
.Lfunc_end49:
	.size	_ZN9rocsolver6v33100L25stedc_mergeVectors_kernelILb1EdEEviiPT0_iilS3_S3_Pi, .Lfunc_end49-_ZN9rocsolver6v33100L25stedc_mergeVectors_kernelILb1EdEEviiPT0_iilS3_S3_Pi
                                        ; -- End function
	.section	.AMDGPU.csdata,"",@progbits
; Kernel info:
; codeLenInByte = 1148
; NumSgprs: 29
; NumVgprs: 24
; NumAgprs: 0
; TotalNumVgprs: 24
; ScratchSize: 0
; MemoryBound: 0
; FloatMode: 240
; IeeeMode: 1
; LDSByteSize: 4096 bytes/workgroup (compile time only)
; SGPRBlocks: 3
; VGPRBlocks: 2
; NumSGPRsForWavesPerEU: 29
; NumVGPRsForWavesPerEU: 24
; AccumOffset: 24
; Occupancy: 8
; WaveLimiterHint : 1
; COMPUTE_PGM_RSRC2:SCRATCH_EN: 0
; COMPUTE_PGM_RSRC2:USER_SGPR: 6
; COMPUTE_PGM_RSRC2:TRAP_HANDLER: 0
; COMPUTE_PGM_RSRC2:TGID_X_EN: 1
; COMPUTE_PGM_RSRC2:TGID_Y_EN: 1
; COMPUTE_PGM_RSRC2:TGID_Z_EN: 0
; COMPUTE_PGM_RSRC2:TIDIG_COMP_CNT: 0
; COMPUTE_PGM_RSRC3_GFX90A:ACCUM_OFFSET: 5
; COMPUTE_PGM_RSRC3_GFX90A:TG_SPLIT: 0
	.section	.text._ZN9rocsolver6v33100L24stedc_mergeUpdate_kernelIdEEviiPT_lS3_iilS3_S3_Pi,"axG",@progbits,_ZN9rocsolver6v33100L24stedc_mergeUpdate_kernelIdEEviiPT_lS3_iilS3_S3_Pi,comdat
	.globl	_ZN9rocsolver6v33100L24stedc_mergeUpdate_kernelIdEEviiPT_lS3_iilS3_S3_Pi ; -- Begin function _ZN9rocsolver6v33100L24stedc_mergeUpdate_kernelIdEEviiPT_lS3_iilS3_S3_Pi
	.p2align	8
	.type	_ZN9rocsolver6v33100L24stedc_mergeUpdate_kernelIdEEviiPT_lS3_iilS3_S3_Pi,@function
_ZN9rocsolver6v33100L24stedc_mergeUpdate_kernelIdEEviiPT_lS3_iilS3_S3_Pi: ; @_ZN9rocsolver6v33100L24stedc_mergeUpdate_kernelIdEEviiPT_lS3_iilS3_S3_Pi
; %bb.0:
	s_load_dword s2, s[4:5], 0x4
	s_load_dwordx8 s[8:15], s[4:5], 0x28
	s_mov_b32 s0, s7
	s_waitcnt lgkmcnt(0)
	s_mul_i32 s1, s7, s2
	s_mul_i32 s16, s1, 13
	s_ashr_i32 s17, s16, 31
	s_lshl_b64 s[16:17], s[16:17], 2
	s_add_u32 s3, s14, s16
	s_mul_i32 s14, s2, 7
	s_addc_u32 s7, s15, s17
	s_ashr_i32 s15, s14, 31
	s_lshl_b64 s[14:15], s[14:15], 2
	s_add_u32 s16, s3, s14
	s_addc_u32 s17, s7, s15
	s_ashr_i32 s3, s2, 31
	s_lshl_b64 s[20:21], s[2:3], 3
	s_sub_u32 s25, s16, s20
	s_subb_u32 s26, s17, s21
	s_lshl_b64 s[14:15], s[2:3], 2
	s_add_u32 s3, s25, s14
	s_addc_u32 s15, s26, s15
	s_ashr_i32 s7, s6, 31
	s_lshl_b64 s[22:23], s[6:7], 2
	s_add_u32 s14, s3, s22
	s_addc_u32 s15, s15, s23
	s_add_u32 s16, s16, s22
	s_addc_u32 s17, s17, s23
	s_load_dword s3, s[14:15], 0x0
	s_load_dword s18, s[16:17], 0x0
	s_waitcnt lgkmcnt(0)
	s_sub_i32 s14, s6, s3
	s_cmp_ge_i32 s14, s18
	s_cbranch_scc1 .LBB50_6
; %bb.1:
	s_ashr_i32 s24, s0, 31
	s_add_u32 s22, s25, s22
	s_addc_u32 s23, s26, s23
	s_load_dwordx4 s[16:19], s[4:5], 0x8
	s_load_dwordx2 s[14:15], s[4:5], 0x18
	s_load_dword s25, s[22:23], 0x0
	v_cmp_eq_u32_e32 vcc, 0, v0
	s_and_saveexec_b64 s[22:23], vcc
	s_cbranch_execz .LBB50_3
; %bb.2:
	s_waitcnt lgkmcnt(0)
	s_mul_i32 s19, s0, s19
	s_mul_hi_u32 s26, s0, s18
	s_add_i32 s19, s26, s19
	s_mul_i32 s26, s24, s18
	s_add_i32 s19, s19, s26
	s_mul_i32 s18, s0, s18
	s_lshl_b64 s[18:19], s[18:19], 3
	s_add_u32 s18, s16, s18
	s_addc_u32 s19, s17, s19
	s_lshl_b64 s[16:17], s[6:7], 3
	s_add_u32 s18, s18, s16
	s_mul_i32 s26, s1, 10
	s_addc_u32 s19, s19, s17
	s_ashr_i32 s27, s26, 31
	s_lshl_b64 s[26:27], s[26:27], 3
	s_add_u32 s7, s10, s26
	s_addc_u32 s10, s11, s27
	s_add_u32 s7, s7, s20
	s_addc_u32 s11, s10, s21
	;; [unrolled: 2-line block ×3, first 2 shown]
	s_load_dwordx2 s[10:11], s[10:11], 0x0
	v_mov_b32_e32 v1, 0
	s_waitcnt lgkmcnt(0)
	v_pk_mov_b32 v[2:3], s[10:11], s[10:11] op_sel:[0,1]
	global_store_dwordx2 v1, v[2:3], s[18:19]
.LBB50_3:
	s_or_b64 exec, exec, s[22:23]
	v_add_u32_e32 v0, s3, v0
	s_waitcnt lgkmcnt(0)
	s_add_i32 s3, s25, s3
	v_cmp_gt_i32_e32 vcc, s3, v0
	s_and_saveexec_b64 s[10:11], vcc
	s_cbranch_execz .LBB50_6
; %bb.4:
	s_load_dwordx2 s[10:11], s[4:5], 0x20
	s_load_dword s16, s[4:5], 0x54
	s_mul_i32 s7, s0, s9
	s_mul_hi_u32 s9, s0, s8
	s_add_i32 s7, s9, s7
	s_mul_i32 s24, s24, s8
	s_add_i32 s9, s7, s24
	s_mul_i32 s8, s0, s8
	s_waitcnt lgkmcnt(0)
	s_ashr_i32 s5, s10, 31
	s_lshl_b64 s[8:9], s[8:9], 3
	s_mov_b32 s4, s10
	s_add_u32 s0, s14, s8
	s_addc_u32 s7, s15, s9
	s_lshl_b64 s[4:5], s[4:5], 3
	s_add_u32 s4, s0, s4
	s_mul_i32 s1, s1, s2
	s_addc_u32 s8, s7, s5
	s_lshl_b32 s0, s1, 1
	s_ashr_i32 s1, s0, 31
	s_lshl_b64 s[0:1], s[0:1], 3
	s_add_u32 s5, s12, s0
	s_addc_u32 s9, s13, s1
	s_mul_i32 s2, s6, s2
	s_mul_i32 s6, s6, s11
	s_and_b32 s7, s16, 0xffff
	s_mov_b64 s[0:1], 0
	v_mov_b32_e32 v1, s9
	v_mov_b32_e32 v2, s8
.LBB50_5:                               ; =>This Inner Loop Header: Depth=1
	v_add_u32_e32 v4, s2, v0
	v_ashrrev_i32_e32 v5, 31, v4
	v_lshlrev_b64 v[4:5], 3, v[4:5]
	v_add_co_u32_e32 v4, vcc, s5, v4
	v_addc_co_u32_e32 v5, vcc, v1, v5, vcc
	global_load_dwordx2 v[4:5], v[4:5], off
	v_add_u32_e32 v6, s6, v0
	v_add_u32_e32 v0, s7, v0
	v_ashrrev_i32_e32 v7, 31, v6
	v_cmp_le_i32_e32 vcc, s3, v0
	v_lshlrev_b64 v[6:7], 3, v[6:7]
	s_or_b64 s[0:1], vcc, s[0:1]
	v_add_co_u32_e32 v6, vcc, s4, v6
	v_addc_co_u32_e32 v7, vcc, v2, v7, vcc
	s_waitcnt vmcnt(0)
	global_store_dwordx2 v[6:7], v[4:5], off
	s_andn2_b64 exec, exec, s[0:1]
	s_cbranch_execnz .LBB50_5
.LBB50_6:
	s_endpgm
	.section	.rodata,"a",@progbits
	.p2align	6, 0x0
	.amdhsa_kernel _ZN9rocsolver6v33100L24stedc_mergeUpdate_kernelIdEEviiPT_lS3_iilS3_S3_Pi
		.amdhsa_group_segment_fixed_size 0
		.amdhsa_private_segment_fixed_size 0
		.amdhsa_kernarg_size 328
		.amdhsa_user_sgpr_count 6
		.amdhsa_user_sgpr_private_segment_buffer 1
		.amdhsa_user_sgpr_dispatch_ptr 0
		.amdhsa_user_sgpr_queue_ptr 0
		.amdhsa_user_sgpr_kernarg_segment_ptr 1
		.amdhsa_user_sgpr_dispatch_id 0
		.amdhsa_user_sgpr_flat_scratch_init 0
		.amdhsa_user_sgpr_kernarg_preload_length 0
		.amdhsa_user_sgpr_kernarg_preload_offset 0
		.amdhsa_user_sgpr_private_segment_size 0
		.amdhsa_uses_dynamic_stack 0
		.amdhsa_system_sgpr_private_segment_wavefront_offset 0
		.amdhsa_system_sgpr_workgroup_id_x 1
		.amdhsa_system_sgpr_workgroup_id_y 1
		.amdhsa_system_sgpr_workgroup_id_z 0
		.amdhsa_system_sgpr_workgroup_info 0
		.amdhsa_system_vgpr_workitem_id 0
		.amdhsa_next_free_vgpr 8
		.amdhsa_next_free_sgpr 28
		.amdhsa_accum_offset 8
		.amdhsa_reserve_vcc 1
		.amdhsa_reserve_flat_scratch 0
		.amdhsa_float_round_mode_32 0
		.amdhsa_float_round_mode_16_64 0
		.amdhsa_float_denorm_mode_32 3
		.amdhsa_float_denorm_mode_16_64 3
		.amdhsa_dx10_clamp 1
		.amdhsa_ieee_mode 1
		.amdhsa_fp16_overflow 0
		.amdhsa_tg_split 0
		.amdhsa_exception_fp_ieee_invalid_op 0
		.amdhsa_exception_fp_denorm_src 0
		.amdhsa_exception_fp_ieee_div_zero 0
		.amdhsa_exception_fp_ieee_overflow 0
		.amdhsa_exception_fp_ieee_underflow 0
		.amdhsa_exception_fp_ieee_inexact 0
		.amdhsa_exception_int_div_zero 0
	.end_amdhsa_kernel
	.section	.text._ZN9rocsolver6v33100L24stedc_mergeUpdate_kernelIdEEviiPT_lS3_iilS3_S3_Pi,"axG",@progbits,_ZN9rocsolver6v33100L24stedc_mergeUpdate_kernelIdEEviiPT_lS3_iilS3_S3_Pi,comdat
.Lfunc_end50:
	.size	_ZN9rocsolver6v33100L24stedc_mergeUpdate_kernelIdEEviiPT_lS3_iilS3_S3_Pi, .Lfunc_end50-_ZN9rocsolver6v33100L24stedc_mergeUpdate_kernelIdEEviiPT_lS3_iilS3_S3_Pi
                                        ; -- End function
	.section	.AMDGPU.csdata,"",@progbits
; Kernel info:
; codeLenInByte = 568
; NumSgprs: 32
; NumVgprs: 8
; NumAgprs: 0
; TotalNumVgprs: 8
; ScratchSize: 0
; MemoryBound: 0
; FloatMode: 240
; IeeeMode: 1
; LDSByteSize: 0 bytes/workgroup (compile time only)
; SGPRBlocks: 3
; VGPRBlocks: 0
; NumSGPRsForWavesPerEU: 32
; NumVGPRsForWavesPerEU: 8
; AccumOffset: 8
; Occupancy: 8
; WaveLimiterHint : 0
; COMPUTE_PGM_RSRC2:SCRATCH_EN: 0
; COMPUTE_PGM_RSRC2:USER_SGPR: 6
; COMPUTE_PGM_RSRC2:TRAP_HANDLER: 0
; COMPUTE_PGM_RSRC2:TGID_X_EN: 1
; COMPUTE_PGM_RSRC2:TGID_Y_EN: 1
; COMPUTE_PGM_RSRC2:TGID_Z_EN: 0
; COMPUTE_PGM_RSRC2:TIDIG_COMP_CNT: 0
; COMPUTE_PGM_RSRC3_GFX90A:ACCUM_OFFSET: 1
; COMPUTE_PGM_RSRC3_GFX90A:TG_SPLIT: 0
	.section	.text._ZN9rocsolver6v33100L8copy_matIdPdNS0_7no_maskEEEvNS0_17copymat_directionEiiT0_iilPT_T1_13rocblas_fill_17rocblas_diagonal_,"axG",@progbits,_ZN9rocsolver6v33100L8copy_matIdPdNS0_7no_maskEEEvNS0_17copymat_directionEiiT0_iilPT_T1_13rocblas_fill_17rocblas_diagonal_,comdat
	.globl	_ZN9rocsolver6v33100L8copy_matIdPdNS0_7no_maskEEEvNS0_17copymat_directionEiiT0_iilPT_T1_13rocblas_fill_17rocblas_diagonal_ ; -- Begin function _ZN9rocsolver6v33100L8copy_matIdPdNS0_7no_maskEEEvNS0_17copymat_directionEiiT0_iilPT_T1_13rocblas_fill_17rocblas_diagonal_
	.p2align	8
	.type	_ZN9rocsolver6v33100L8copy_matIdPdNS0_7no_maskEEEvNS0_17copymat_directionEiiT0_iilPT_T1_13rocblas_fill_17rocblas_diagonal_,@function
_ZN9rocsolver6v33100L8copy_matIdPdNS0_7no_maskEEEvNS0_17copymat_directionEiiT0_iilPT_T1_13rocblas_fill_17rocblas_diagonal_: ; @_ZN9rocsolver6v33100L8copy_matIdPdNS0_7no_maskEEEvNS0_17copymat_directionEiiT0_iilPT_T1_13rocblas_fill_17rocblas_diagonal_
; %bb.0:
	s_load_dword s0, s[4:5], 0x4c
	s_load_dwordx4 s[12:15], s[4:5], 0x0
	v_bfe_u32 v1, v0, 10, 10
	v_and_b32_e32 v0, 0x3ff, v0
	s_waitcnt lgkmcnt(0)
	s_lshr_b32 s1, s0, 16
	s_and_b32 s0, s0, 0xffff
	s_mul_i32 s7, s7, s1
	s_mul_i32 s6, s6, s0
	v_add_u32_e32 v1, s7, v1
	v_add_u32_e32 v0, s6, v0
	v_cmp_gt_u32_e32 vcc, s13, v0
	v_cmp_gt_u32_e64 s[0:1], s14, v1
	s_and_b64 s[0:1], s[0:1], vcc
	s_and_saveexec_b64 s[2:3], s[0:1]
	s_cbranch_execz .LBB51_14
; %bb.1:
	s_load_dwordx2 s[2:3], s[4:5], 0x34
	s_waitcnt lgkmcnt(0)
	s_cmpk_lt_i32 s2, 0x7a
	s_cbranch_scc1 .LBB51_4
; %bb.2:
	s_cmpk_gt_i32 s2, 0x7a
	s_cbranch_scc0 .LBB51_5
; %bb.3:
	s_cmpk_lg_i32 s2, 0x7b
	s_mov_b64 s[6:7], -1
	s_cselect_b64 s[10:11], -1, 0
	s_cbranch_execz .LBB51_6
	s_branch .LBB51_7
.LBB51_4:
	s_mov_b64 s[10:11], 0
	s_mov_b64 s[6:7], 0
	s_cbranch_execnz .LBB51_8
	s_branch .LBB51_10
.LBB51_5:
	s_mov_b64 s[6:7], 0
	s_mov_b64 s[10:11], 0
.LBB51_6:
	v_cmp_gt_u32_e32 vcc, v0, v1
	v_cmp_le_u32_e64 s[0:1], v0, v1
	s_andn2_b64 s[6:7], s[6:7], exec
	s_and_b64 s[16:17], vcc, exec
	s_andn2_b64 s[10:11], s[10:11], exec
	s_and_b64 s[0:1], s[0:1], exec
	s_or_b64 s[6:7], s[6:7], s[16:17]
	s_or_b64 s[10:11], s[10:11], s[0:1]
.LBB51_7:
	s_branch .LBB51_10
.LBB51_8:
	s_cmpk_eq_i32 s2, 0x79
	s_mov_b64 s[10:11], -1
	s_cbranch_scc0 .LBB51_10
; %bb.9:
	v_cmp_gt_u32_e32 vcc, v1, v0
	v_cmp_le_u32_e64 s[0:1], v1, v0
	s_andn2_b64 s[6:7], s[6:7], exec
	s_and_b64 s[10:11], vcc, exec
	s_or_b64 s[6:7], s[6:7], s[10:11]
	s_orn2_b64 s[10:11], s[0:1], exec
.LBB51_10:
	s_and_saveexec_b64 s[0:1], s[10:11]
; %bb.11:
	s_cmpk_eq_i32 s3, 0x83
	s_cselect_b64 s[2:3], -1, 0
	v_cmp_eq_u32_e32 vcc, v0, v1
	s_and_b64 s[2:3], s[2:3], vcc
	s_andn2_b64 s[6:7], s[6:7], exec
	s_and_b64 s[2:3], s[2:3], exec
	s_or_b64 s[6:7], s[6:7], s[2:3]
; %bb.12:
	s_or_b64 exec, exec, s[0:1]
	s_and_b64 exec, exec, s[6:7]
	s_cbranch_execz .LBB51_14
; %bb.13:
	s_load_dwordx8 s[0:7], s[4:5], 0x10
	s_ashr_i32 s9, s13, 31
	s_ashr_i32 s15, s14, 31
	s_mul_i32 s9, s9, s8
	s_waitcnt lgkmcnt(0)
	s_ashr_i32 s11, s2, 31
	s_mov_b32 s10, s2
	s_mul_i32 s2, s8, s5
	s_mul_hi_u32 s5, s8, s4
	s_add_i32 s5, s5, s2
	s_mul_i32 s4, s8, s4
	s_lshl_b64 s[4:5], s[4:5], 3
	s_add_u32 s2, s0, s4
	s_addc_u32 s4, s1, s5
	s_lshl_b64 s[0:1], s[10:11], 3
	s_add_u32 s2, s2, s0
	s_mul_hi_u32 s0, s13, s8
	s_mul_i32 s5, s13, s8
	s_addc_u32 s4, s4, s1
	s_add_i32 s0, s0, s9
	s_mul_i32 s1, s5, s15
	s_mul_hi_u32 s8, s5, s14
	s_add_i32 s1, s8, s1
	s_mul_i32 s0, s0, s14
	s_add_i32 s1, s1, s0
	s_mul_i32 s0, s5, s14
	s_lshl_b64 s[0:1], s[0:1], 3
	s_add_u32 s5, s6, s0
	s_addc_u32 s6, s7, s1
	s_cmp_eq_u32 s12, 0
	s_cselect_b32 s0, s3, s13
	v_mad_u64_u32 v[2:3], s[0:1], v1, s0, v[0:1]
	v_mov_b32_e32 v3, 0
	s_cselect_b32 s7, s4, s6
	s_cselect_b32 s8, s2, s5
	v_lshlrev_b64 v[4:5], 3, v[2:3]
	v_mov_b32_e32 v2, s7
	v_add_co_u32_e32 v4, vcc, s8, v4
	v_addc_co_u32_e32 v5, vcc, v2, v5, vcc
	global_load_dwordx2 v[4:5], v[4:5], off
	s_cselect_b32 s0, s13, s3
	v_mad_u64_u32 v[0:1], s[0:1], v1, s0, v[0:1]
	v_mov_b32_e32 v1, v3
	s_cselect_b32 s3, s6, s4
	s_cselect_b32 s2, s5, s2
	v_lshlrev_b64 v[0:1], 3, v[0:1]
	v_mov_b32_e32 v2, s3
	v_add_co_u32_e32 v0, vcc, s2, v0
	v_addc_co_u32_e32 v1, vcc, v2, v1, vcc
	s_waitcnt vmcnt(0)
	global_store_dwordx2 v[0:1], v[4:5], off
.LBB51_14:
	s_endpgm
	.section	.rodata,"a",@progbits
	.p2align	6, 0x0
	.amdhsa_kernel _ZN9rocsolver6v33100L8copy_matIdPdNS0_7no_maskEEEvNS0_17copymat_directionEiiT0_iilPT_T1_13rocblas_fill_17rocblas_diagonal_
		.amdhsa_group_segment_fixed_size 0
		.amdhsa_private_segment_fixed_size 0
		.amdhsa_kernarg_size 320
		.amdhsa_user_sgpr_count 6
		.amdhsa_user_sgpr_private_segment_buffer 1
		.amdhsa_user_sgpr_dispatch_ptr 0
		.amdhsa_user_sgpr_queue_ptr 0
		.amdhsa_user_sgpr_kernarg_segment_ptr 1
		.amdhsa_user_sgpr_dispatch_id 0
		.amdhsa_user_sgpr_flat_scratch_init 0
		.amdhsa_user_sgpr_kernarg_preload_length 0
		.amdhsa_user_sgpr_kernarg_preload_offset 0
		.amdhsa_user_sgpr_private_segment_size 0
		.amdhsa_uses_dynamic_stack 0
		.amdhsa_system_sgpr_private_segment_wavefront_offset 0
		.amdhsa_system_sgpr_workgroup_id_x 1
		.amdhsa_system_sgpr_workgroup_id_y 1
		.amdhsa_system_sgpr_workgroup_id_z 1
		.amdhsa_system_sgpr_workgroup_info 0
		.amdhsa_system_vgpr_workitem_id 1
		.amdhsa_next_free_vgpr 6
		.amdhsa_next_free_sgpr 18
		.amdhsa_accum_offset 8
		.amdhsa_reserve_vcc 1
		.amdhsa_reserve_flat_scratch 0
		.amdhsa_float_round_mode_32 0
		.amdhsa_float_round_mode_16_64 0
		.amdhsa_float_denorm_mode_32 3
		.amdhsa_float_denorm_mode_16_64 3
		.amdhsa_dx10_clamp 1
		.amdhsa_ieee_mode 1
		.amdhsa_fp16_overflow 0
		.amdhsa_tg_split 0
		.amdhsa_exception_fp_ieee_invalid_op 0
		.amdhsa_exception_fp_denorm_src 0
		.amdhsa_exception_fp_ieee_div_zero 0
		.amdhsa_exception_fp_ieee_overflow 0
		.amdhsa_exception_fp_ieee_underflow 0
		.amdhsa_exception_fp_ieee_inexact 0
		.amdhsa_exception_int_div_zero 0
	.end_amdhsa_kernel
	.section	.text._ZN9rocsolver6v33100L8copy_matIdPdNS0_7no_maskEEEvNS0_17copymat_directionEiiT0_iilPT_T1_13rocblas_fill_17rocblas_diagonal_,"axG",@progbits,_ZN9rocsolver6v33100L8copy_matIdPdNS0_7no_maskEEEvNS0_17copymat_directionEiiT0_iilPT_T1_13rocblas_fill_17rocblas_diagonal_,comdat
.Lfunc_end51:
	.size	_ZN9rocsolver6v33100L8copy_matIdPdNS0_7no_maskEEEvNS0_17copymat_directionEiiT0_iilPT_T1_13rocblas_fill_17rocblas_diagonal_, .Lfunc_end51-_ZN9rocsolver6v33100L8copy_matIdPdNS0_7no_maskEEEvNS0_17copymat_directionEiiT0_iilPT_T1_13rocblas_fill_17rocblas_diagonal_
                                        ; -- End function
	.section	.AMDGPU.csdata,"",@progbits
; Kernel info:
; codeLenInByte = 520
; NumSgprs: 22
; NumVgprs: 6
; NumAgprs: 0
; TotalNumVgprs: 6
; ScratchSize: 0
; MemoryBound: 0
; FloatMode: 240
; IeeeMode: 1
; LDSByteSize: 0 bytes/workgroup (compile time only)
; SGPRBlocks: 2
; VGPRBlocks: 0
; NumSGPRsForWavesPerEU: 22
; NumVGPRsForWavesPerEU: 6
; AccumOffset: 8
; Occupancy: 8
; WaveLimiterHint : 0
; COMPUTE_PGM_RSRC2:SCRATCH_EN: 0
; COMPUTE_PGM_RSRC2:USER_SGPR: 6
; COMPUTE_PGM_RSRC2:TRAP_HANDLER: 0
; COMPUTE_PGM_RSRC2:TGID_X_EN: 1
; COMPUTE_PGM_RSRC2:TGID_Y_EN: 1
; COMPUTE_PGM_RSRC2:TGID_Z_EN: 1
; COMPUTE_PGM_RSRC2:TIDIG_COMP_CNT: 1
; COMPUTE_PGM_RSRC3_GFX90A:ACCUM_OFFSET: 1
; COMPUTE_PGM_RSRC3_GFX90A:TG_SPLIT: 0
	.section	.text._ZN9rocsolver6v33100L11stedc_copyDIdEEviPT_lS3_l,"axG",@progbits,_ZN9rocsolver6v33100L11stedc_copyDIdEEviPT_lS3_l,comdat
	.globl	_ZN9rocsolver6v33100L11stedc_copyDIdEEviPT_lS3_l ; -- Begin function _ZN9rocsolver6v33100L11stedc_copyDIdEEviPT_lS3_l
	.p2align	8
	.type	_ZN9rocsolver6v33100L11stedc_copyDIdEEviPT_lS3_l,@function
_ZN9rocsolver6v33100L11stedc_copyDIdEEviPT_lS3_l: ; @_ZN9rocsolver6v33100L11stedc_copyDIdEEviPT_lS3_l
; %bb.0:
	s_load_dword s0, s[4:5], 0x34
	s_load_dword s37, s[4:5], 0x0
	s_waitcnt lgkmcnt(0)
	s_and_b32 s33, s0, 0xffff
	s_lshl_b32 s36, s33, 4
	v_cvt_f32_u32_e32 v1, s36
	s_sub_i32 s2, 0, s36
	s_add_i32 s0, s37, -1
	s_ashr_i32 s1, s0, 31
	v_rcp_iflag_f32_e32 v1, v1
	s_abs_i32 s0, s0
	v_mul_f32_e32 v1, 0x4f7ffffe, v1
	v_cvt_u32_f32_e32 v1, v1
	v_readfirstlane_b32 s3, v1
	s_mul_i32 s2, s2, s3
	s_mul_hi_u32 s2, s3, s2
	s_add_i32 s3, s3, s2
	s_mul_hi_u32 s2, s0, s3
	s_mul_i32 s3, s2, s36
	s_sub_i32 s0, s0, s3
	s_add_i32 s6, s2, 1
	s_sub_i32 s3, s0, s36
	s_cmp_ge_u32 s0, s36
	s_cselect_b32 s2, s6, s2
	s_cselect_b32 s0, s3, s0
	s_add_i32 s3, s2, 1
	s_cmp_ge_u32 s0, s36
	s_cselect_b32 s0, s3, s2
	s_xor_b32 s0, s0, s1
	s_sub_i32 s0, s0, s1
	s_cmp_lt_i32 s0, 0
	s_cbranch_scc1 .LBB52_67
; %bb.1:
	s_load_dwordx8 s[8:15], s[4:5], 0x8
	s_ashr_i32 s1, s7, 31
	s_mul_i32 s44, s33, 3
	s_mul_i32 s46, s33, 5
	;; [unrolled: 1-line block ×3, first 2 shown]
	s_waitcnt lgkmcnt(0)
	s_mul_i32 s3, s7, s11
	s_mul_hi_u32 s4, s7, s10
	s_mul_i32 s5, s1, s10
	s_add_i32 s3, s4, s3
	s_mul_i32 s2, s7, s10
	s_add_i32 s3, s3, s5
	s_lshl_b64 s[2:3], s[2:3], 3
	s_add_u32 s38, s8, s2
	s_addc_u32 s39, s9, s3
	s_mul_i32 s2, s7, s15
	s_mul_hi_u32 s3, s7, s14
	s_add_i32 s2, s3, s2
	s_mul_i32 s1, s1, s14
	s_add_i32 s3, s2, s1
	s_mul_i32 s2, s7, s14
	s_lshl_b64 s[2:3], s[2:3], 3
	s_add_u32 s40, s12, s2
	s_addc_u32 s41, s13, s3
	s_add_i32 s42, s0, 1
	s_lshl_b32 s43, s33, 1
	s_lshl_b32 s45, s33, 2
	s_mul_i32 s48, s33, 7
	s_lshl_b32 s49, s33, 3
	s_mul_i32 s50, s33, 9
	s_mul_i32 s51, s33, 10
	;; [unrolled: 1-line block ×7, first 2 shown]
                                        ; implicit-def: $vgpr2_vgpr3_vgpr4_vgpr5_vgpr6_vgpr7_vgpr8_vgpr9_vgpr10_vgpr11_vgpr12_vgpr13_vgpr14_vgpr15_vgpr16_vgpr17_vgpr18_vgpr19_vgpr20_vgpr21_vgpr22_vgpr23_vgpr24_vgpr25_vgpr26_vgpr27_vgpr28_vgpr29_vgpr30_vgpr31_vgpr32_vgpr33
	s_branch .LBB52_3
.LBB52_2:                               ;   in Loop: Header=BB52_3 Depth=1
	s_or_b64 exec, exec, s[0:1]
	s_add_i32 s42, s42, -1
	s_cmp_eq_u32 s42, 0
	v_add_u32_e32 v0, s36, v0
	s_cbranch_scc1 .LBB52_67
.LBB52_3:                               ; =>This Inner Loop Header: Depth=1
	v_cmp_gt_i32_e32 vcc, s37, v0
	v_ashrrev_i32_e32 v1, 31, v0
	s_and_saveexec_b64 s[2:3], vcc
	s_cbranch_execz .LBB52_5
; %bb.4:                                ;   in Loop: Header=BB52_3 Depth=1
	s_waitcnt vmcnt(0)
	v_lshlrev_b64 v[2:3], 3, v[0:1]
	v_mov_b32_e32 v34, s39
	v_add_co_u32_e64 v2, s[0:1], s38, v2
	v_addc_co_u32_e64 v3, s[0:1], v34, v3, s[0:1]
	global_load_dwordx2 v[2:3], v[2:3], off
.LBB52_5:                               ;   in Loop: Header=BB52_3 Depth=1
	s_or_b64 exec, exec, s[2:3]
	v_add_u32_e32 v34, s33, v0
	v_cmp_gt_i32_e64 s[0:1], s37, v34
	v_ashrrev_i32_e32 v35, 31, v34
	s_and_saveexec_b64 s[4:5], s[0:1]
	s_cbranch_execz .LBB52_7
; %bb.6:                                ;   in Loop: Header=BB52_3 Depth=1
	s_waitcnt vmcnt(0)
	v_lshlrev_b64 v[4:5], 3, v[34:35]
	v_mov_b32_e32 v36, s39
	v_add_co_u32_e64 v4, s[2:3], s38, v4
	v_addc_co_u32_e64 v5, s[2:3], v36, v5, s[2:3]
	global_load_dwordx2 v[4:5], v[4:5], off
.LBB52_7:                               ;   in Loop: Header=BB52_3 Depth=1
	s_or_b64 exec, exec, s[4:5]
	v_add_u32_e32 v36, s43, v0
	v_add_u32_e32 v39, s33, v34
	v_cmp_gt_i32_e64 s[2:3], s37, v39
	v_ashrrev_i32_e32 v37, 31, v36
	s_and_saveexec_b64 s[6:7], s[2:3]
	s_cbranch_execz .LBB52_9
; %bb.8:                                ;   in Loop: Header=BB52_3 Depth=1
	s_waitcnt vmcnt(0)
	v_lshlrev_b64 v[6:7], 3, v[36:37]
	v_mov_b32_e32 v38, s39
	v_add_co_u32_e64 v6, s[4:5], s38, v6
	v_addc_co_u32_e64 v7, s[4:5], v38, v7, s[4:5]
	global_load_dwordx2 v[6:7], v[6:7], off
.LBB52_9:                               ;   in Loop: Header=BB52_3 Depth=1
	s_or_b64 exec, exec, s[6:7]
	v_add_u32_e32 v38, s44, v0
	v_add_u32_e32 v41, s33, v39
	v_cmp_gt_i32_e64 s[4:5], s37, v41
	v_ashrrev_i32_e32 v39, 31, v38
	s_and_saveexec_b64 s[8:9], s[4:5]
	s_cbranch_execz .LBB52_11
; %bb.10:                               ;   in Loop: Header=BB52_3 Depth=1
	s_waitcnt vmcnt(0)
	v_lshlrev_b64 v[8:9], 3, v[38:39]
	v_mov_b32_e32 v40, s39
	v_add_co_u32_e64 v8, s[6:7], s38, v8
	v_addc_co_u32_e64 v9, s[6:7], v40, v9, s[6:7]
	global_load_dwordx2 v[8:9], v[8:9], off
.LBB52_11:                              ;   in Loop: Header=BB52_3 Depth=1
	s_or_b64 exec, exec, s[8:9]
	v_add_u32_e32 v40, s45, v0
	v_add_u32_e32 v43, s33, v41
	v_cmp_gt_i32_e64 s[6:7], s37, v43
	v_ashrrev_i32_e32 v41, 31, v40
	s_and_saveexec_b64 s[10:11], s[6:7]
	s_cbranch_execz .LBB52_13
; %bb.12:                               ;   in Loop: Header=BB52_3 Depth=1
	s_waitcnt vmcnt(0)
	v_lshlrev_b64 v[10:11], 3, v[40:41]
	v_mov_b32_e32 v42, s39
	v_add_co_u32_e64 v10, s[8:9], s38, v10
	v_addc_co_u32_e64 v11, s[8:9], v42, v11, s[8:9]
	global_load_dwordx2 v[10:11], v[10:11], off
.LBB52_13:                              ;   in Loop: Header=BB52_3 Depth=1
	;; [unrolled: 15-line block ×12, first 2 shown]
	s_or_b64 exec, exec, s[30:31]
	v_add_u32_e32 v62, s56, v0
	v_add_u32_e32 v63, s33, v63
	v_cmp_gt_i32_e64 s[28:29], s37, v63
	v_ashrrev_i32_e32 v63, 31, v62
	s_and_saveexec_b64 s[34:35], s[28:29]
	s_cbranch_execnz .LBB52_50
; %bb.34:                               ;   in Loop: Header=BB52_3 Depth=1
	s_or_b64 exec, exec, s[34:35]
	s_and_saveexec_b64 s[30:31], vcc
	s_cbranch_execnz .LBB52_51
.LBB52_35:                              ;   in Loop: Header=BB52_3 Depth=1
	s_or_b64 exec, exec, s[30:31]
	s_and_saveexec_b64 s[30:31], s[0:1]
	s_cbranch_execnz .LBB52_52
.LBB52_36:                              ;   in Loop: Header=BB52_3 Depth=1
	s_or_b64 exec, exec, s[30:31]
	s_and_saveexec_b64 s[0:1], s[2:3]
	s_cbranch_execnz .LBB52_53
.LBB52_37:                              ;   in Loop: Header=BB52_3 Depth=1
	s_or_b64 exec, exec, s[0:1]
	s_and_saveexec_b64 s[0:1], s[4:5]
	s_cbranch_execnz .LBB52_54
.LBB52_38:                              ;   in Loop: Header=BB52_3 Depth=1
	s_or_b64 exec, exec, s[0:1]
	s_and_saveexec_b64 s[0:1], s[6:7]
	s_cbranch_execnz .LBB52_55
.LBB52_39:                              ;   in Loop: Header=BB52_3 Depth=1
	s_or_b64 exec, exec, s[0:1]
	s_and_saveexec_b64 s[0:1], s[8:9]
	s_cbranch_execnz .LBB52_56
.LBB52_40:                              ;   in Loop: Header=BB52_3 Depth=1
	s_or_b64 exec, exec, s[0:1]
	s_and_saveexec_b64 s[0:1], s[10:11]
	s_cbranch_execnz .LBB52_57
.LBB52_41:                              ;   in Loop: Header=BB52_3 Depth=1
	s_or_b64 exec, exec, s[0:1]
	s_and_saveexec_b64 s[0:1], s[12:13]
	s_cbranch_execnz .LBB52_58
.LBB52_42:                              ;   in Loop: Header=BB52_3 Depth=1
	s_or_b64 exec, exec, s[0:1]
	s_and_saveexec_b64 s[0:1], s[14:15]
	s_cbranch_execnz .LBB52_59
.LBB52_43:                              ;   in Loop: Header=BB52_3 Depth=1
	s_or_b64 exec, exec, s[0:1]
	s_and_saveexec_b64 s[0:1], s[16:17]
	s_cbranch_execnz .LBB52_60
.LBB52_44:                              ;   in Loop: Header=BB52_3 Depth=1
	s_or_b64 exec, exec, s[0:1]
	s_and_saveexec_b64 s[0:1], s[18:19]
	s_cbranch_execnz .LBB52_61
.LBB52_45:                              ;   in Loop: Header=BB52_3 Depth=1
	s_or_b64 exec, exec, s[0:1]
	s_and_saveexec_b64 s[0:1], s[20:21]
	s_cbranch_execnz .LBB52_62
.LBB52_46:                              ;   in Loop: Header=BB52_3 Depth=1
	s_or_b64 exec, exec, s[0:1]
	s_and_saveexec_b64 s[0:1], s[22:23]
	s_cbranch_execnz .LBB52_63
.LBB52_47:                              ;   in Loop: Header=BB52_3 Depth=1
	s_or_b64 exec, exec, s[0:1]
	s_and_saveexec_b64 s[0:1], s[24:25]
	s_cbranch_execnz .LBB52_64
.LBB52_48:                              ;   in Loop: Header=BB52_3 Depth=1
	s_or_b64 exec, exec, s[0:1]
	s_and_saveexec_b64 s[0:1], s[26:27]
	s_cbranch_execnz .LBB52_65
.LBB52_49:                              ;   in Loop: Header=BB52_3 Depth=1
	s_or_b64 exec, exec, s[0:1]
	s_and_saveexec_b64 s[0:1], s[28:29]
	s_cbranch_execz .LBB52_2
	s_branch .LBB52_66
.LBB52_50:                              ;   in Loop: Header=BB52_3 Depth=1
	s_waitcnt vmcnt(0)
	v_lshlrev_b64 v[32:33], 3, v[62:63]
	v_mov_b32_e32 v64, s39
	v_add_co_u32_e64 v32, s[30:31], s38, v32
	v_addc_co_u32_e64 v33, s[30:31], v64, v33, s[30:31]
	global_load_dwordx2 v[32:33], v[32:33], off
	s_or_b64 exec, exec, s[34:35]
	s_and_saveexec_b64 s[30:31], vcc
	s_cbranch_execz .LBB52_35
.LBB52_51:                              ;   in Loop: Header=BB52_3 Depth=1
	v_lshlrev_b64 v[64:65], 3, v[0:1]
	v_mov_b32_e32 v1, s41
	v_add_co_u32_e32 v64, vcc, s40, v64
	v_addc_co_u32_e32 v65, vcc, v1, v65, vcc
	s_waitcnt vmcnt(0)
	global_store_dwordx2 v[64:65], v[2:3], off
	s_or_b64 exec, exec, s[30:31]
	s_and_saveexec_b64 s[30:31], s[0:1]
	s_cbranch_execz .LBB52_36
.LBB52_52:                              ;   in Loop: Header=BB52_3 Depth=1
	v_lshlrev_b64 v[34:35], 3, v[34:35]
	v_mov_b32_e32 v1, s41
	v_add_co_u32_e32 v34, vcc, s40, v34
	v_addc_co_u32_e32 v35, vcc, v1, v35, vcc
	s_waitcnt vmcnt(0)
	global_store_dwordx2 v[34:35], v[4:5], off
	s_or_b64 exec, exec, s[30:31]
	s_and_saveexec_b64 s[0:1], s[2:3]
	s_cbranch_execz .LBB52_37
.LBB52_53:                              ;   in Loop: Header=BB52_3 Depth=1
	v_lshlrev_b64 v[34:35], 3, v[36:37]
	v_mov_b32_e32 v1, s41
	v_add_co_u32_e32 v34, vcc, s40, v34
	v_addc_co_u32_e32 v35, vcc, v1, v35, vcc
	s_waitcnt vmcnt(0)
	global_store_dwordx2 v[34:35], v[6:7], off
	s_or_b64 exec, exec, s[0:1]
	s_and_saveexec_b64 s[0:1], s[4:5]
	s_cbranch_execz .LBB52_38
.LBB52_54:                              ;   in Loop: Header=BB52_3 Depth=1
	v_lshlrev_b64 v[34:35], 3, v[38:39]
	v_mov_b32_e32 v1, s41
	v_add_co_u32_e32 v34, vcc, s40, v34
	v_addc_co_u32_e32 v35, vcc, v1, v35, vcc
	s_waitcnt vmcnt(0)
	global_store_dwordx2 v[34:35], v[8:9], off
	s_or_b64 exec, exec, s[0:1]
	s_and_saveexec_b64 s[0:1], s[6:7]
	s_cbranch_execz .LBB52_39
.LBB52_55:                              ;   in Loop: Header=BB52_3 Depth=1
	v_lshlrev_b64 v[34:35], 3, v[40:41]
	v_mov_b32_e32 v1, s41
	v_add_co_u32_e32 v34, vcc, s40, v34
	v_addc_co_u32_e32 v35, vcc, v1, v35, vcc
	s_waitcnt vmcnt(0)
	global_store_dwordx2 v[34:35], v[10:11], off
	s_or_b64 exec, exec, s[0:1]
	s_and_saveexec_b64 s[0:1], s[8:9]
	s_cbranch_execz .LBB52_40
.LBB52_56:                              ;   in Loop: Header=BB52_3 Depth=1
	v_lshlrev_b64 v[34:35], 3, v[42:43]
	v_mov_b32_e32 v1, s41
	v_add_co_u32_e32 v34, vcc, s40, v34
	v_addc_co_u32_e32 v35, vcc, v1, v35, vcc
	s_waitcnt vmcnt(0)
	global_store_dwordx2 v[34:35], v[12:13], off
	s_or_b64 exec, exec, s[0:1]
	s_and_saveexec_b64 s[0:1], s[10:11]
	s_cbranch_execz .LBB52_41
.LBB52_57:                              ;   in Loop: Header=BB52_3 Depth=1
	v_lshlrev_b64 v[34:35], 3, v[44:45]
	v_mov_b32_e32 v1, s41
	v_add_co_u32_e32 v34, vcc, s40, v34
	v_addc_co_u32_e32 v35, vcc, v1, v35, vcc
	s_waitcnt vmcnt(0)
	global_store_dwordx2 v[34:35], v[14:15], off
	s_or_b64 exec, exec, s[0:1]
	s_and_saveexec_b64 s[0:1], s[12:13]
	s_cbranch_execz .LBB52_42
.LBB52_58:                              ;   in Loop: Header=BB52_3 Depth=1
	v_lshlrev_b64 v[34:35], 3, v[46:47]
	v_mov_b32_e32 v1, s41
	v_add_co_u32_e32 v34, vcc, s40, v34
	v_addc_co_u32_e32 v35, vcc, v1, v35, vcc
	s_waitcnt vmcnt(0)
	global_store_dwordx2 v[34:35], v[16:17], off
	s_or_b64 exec, exec, s[0:1]
	s_and_saveexec_b64 s[0:1], s[14:15]
	s_cbranch_execz .LBB52_43
.LBB52_59:                              ;   in Loop: Header=BB52_3 Depth=1
	v_lshlrev_b64 v[34:35], 3, v[48:49]
	v_mov_b32_e32 v1, s41
	v_add_co_u32_e32 v34, vcc, s40, v34
	v_addc_co_u32_e32 v35, vcc, v1, v35, vcc
	s_waitcnt vmcnt(0)
	global_store_dwordx2 v[34:35], v[18:19], off
	s_or_b64 exec, exec, s[0:1]
	s_and_saveexec_b64 s[0:1], s[16:17]
	s_cbranch_execz .LBB52_44
.LBB52_60:                              ;   in Loop: Header=BB52_3 Depth=1
	v_lshlrev_b64 v[34:35], 3, v[50:51]
	v_mov_b32_e32 v1, s41
	v_add_co_u32_e32 v34, vcc, s40, v34
	v_addc_co_u32_e32 v35, vcc, v1, v35, vcc
	s_waitcnt vmcnt(0)
	global_store_dwordx2 v[34:35], v[20:21], off
	s_or_b64 exec, exec, s[0:1]
	s_and_saveexec_b64 s[0:1], s[18:19]
	s_cbranch_execz .LBB52_45
.LBB52_61:                              ;   in Loop: Header=BB52_3 Depth=1
	v_lshlrev_b64 v[34:35], 3, v[52:53]
	v_mov_b32_e32 v1, s41
	v_add_co_u32_e32 v34, vcc, s40, v34
	v_addc_co_u32_e32 v35, vcc, v1, v35, vcc
	s_waitcnt vmcnt(0)
	global_store_dwordx2 v[34:35], v[22:23], off
	s_or_b64 exec, exec, s[0:1]
	s_and_saveexec_b64 s[0:1], s[20:21]
	s_cbranch_execz .LBB52_46
.LBB52_62:                              ;   in Loop: Header=BB52_3 Depth=1
	v_lshlrev_b64 v[34:35], 3, v[54:55]
	v_mov_b32_e32 v1, s41
	v_add_co_u32_e32 v34, vcc, s40, v34
	v_addc_co_u32_e32 v35, vcc, v1, v35, vcc
	s_waitcnt vmcnt(0)
	global_store_dwordx2 v[34:35], v[24:25], off
	s_or_b64 exec, exec, s[0:1]
	s_and_saveexec_b64 s[0:1], s[22:23]
	s_cbranch_execz .LBB52_47
.LBB52_63:                              ;   in Loop: Header=BB52_3 Depth=1
	v_lshlrev_b64 v[34:35], 3, v[56:57]
	v_mov_b32_e32 v1, s41
	v_add_co_u32_e32 v34, vcc, s40, v34
	v_addc_co_u32_e32 v35, vcc, v1, v35, vcc
	s_waitcnt vmcnt(0)
	global_store_dwordx2 v[34:35], v[26:27], off
	s_or_b64 exec, exec, s[0:1]
	s_and_saveexec_b64 s[0:1], s[24:25]
	s_cbranch_execz .LBB52_48
.LBB52_64:                              ;   in Loop: Header=BB52_3 Depth=1
	v_lshlrev_b64 v[34:35], 3, v[58:59]
	v_mov_b32_e32 v1, s41
	v_add_co_u32_e32 v34, vcc, s40, v34
	v_addc_co_u32_e32 v35, vcc, v1, v35, vcc
	s_waitcnt vmcnt(0)
	global_store_dwordx2 v[34:35], v[28:29], off
	s_or_b64 exec, exec, s[0:1]
	s_and_saveexec_b64 s[0:1], s[26:27]
	s_cbranch_execz .LBB52_49
.LBB52_65:                              ;   in Loop: Header=BB52_3 Depth=1
	v_lshlrev_b64 v[34:35], 3, v[60:61]
	v_mov_b32_e32 v1, s41
	v_add_co_u32_e32 v34, vcc, s40, v34
	v_addc_co_u32_e32 v35, vcc, v1, v35, vcc
	s_waitcnt vmcnt(0)
	global_store_dwordx2 v[34:35], v[30:31], off
	s_or_b64 exec, exec, s[0:1]
	s_and_saveexec_b64 s[0:1], s[28:29]
	s_cbranch_execz .LBB52_2
.LBB52_66:                              ;   in Loop: Header=BB52_3 Depth=1
	v_lshlrev_b64 v[34:35], 3, v[62:63]
	v_mov_b32_e32 v1, s41
	v_add_co_u32_e32 v34, vcc, s40, v34
	v_addc_co_u32_e32 v35, vcc, v1, v35, vcc
	s_waitcnt vmcnt(0)
	global_store_dwordx2 v[34:35], v[32:33], off
	s_branch .LBB52_2
.LBB52_67:
	s_endpgm
	.section	.rodata,"a",@progbits
	.p2align	6, 0x0
	.amdhsa_kernel _ZN9rocsolver6v33100L11stedc_copyDIdEEviPT_lS3_l
		.amdhsa_group_segment_fixed_size 0
		.amdhsa_private_segment_fixed_size 0
		.amdhsa_kernarg_size 296
		.amdhsa_user_sgpr_count 6
		.amdhsa_user_sgpr_private_segment_buffer 1
		.amdhsa_user_sgpr_dispatch_ptr 0
		.amdhsa_user_sgpr_queue_ptr 0
		.amdhsa_user_sgpr_kernarg_segment_ptr 1
		.amdhsa_user_sgpr_dispatch_id 0
		.amdhsa_user_sgpr_flat_scratch_init 0
		.amdhsa_user_sgpr_kernarg_preload_length 0
		.amdhsa_user_sgpr_kernarg_preload_offset 0
		.amdhsa_user_sgpr_private_segment_size 0
		.amdhsa_uses_dynamic_stack 0
		.amdhsa_system_sgpr_private_segment_wavefront_offset 0
		.amdhsa_system_sgpr_workgroup_id_x 1
		.amdhsa_system_sgpr_workgroup_id_y 1
		.amdhsa_system_sgpr_workgroup_id_z 0
		.amdhsa_system_sgpr_workgroup_info 0
		.amdhsa_system_vgpr_workitem_id 0
		.amdhsa_next_free_vgpr 66
		.amdhsa_next_free_sgpr 57
		.amdhsa_accum_offset 68
		.amdhsa_reserve_vcc 1
		.amdhsa_reserve_flat_scratch 0
		.amdhsa_float_round_mode_32 0
		.amdhsa_float_round_mode_16_64 0
		.amdhsa_float_denorm_mode_32 3
		.amdhsa_float_denorm_mode_16_64 3
		.amdhsa_dx10_clamp 1
		.amdhsa_ieee_mode 1
		.amdhsa_fp16_overflow 0
		.amdhsa_tg_split 0
		.amdhsa_exception_fp_ieee_invalid_op 0
		.amdhsa_exception_fp_denorm_src 0
		.amdhsa_exception_fp_ieee_div_zero 0
		.amdhsa_exception_fp_ieee_overflow 0
		.amdhsa_exception_fp_ieee_underflow 0
		.amdhsa_exception_fp_ieee_inexact 0
		.amdhsa_exception_int_div_zero 0
	.end_amdhsa_kernel
	.section	.text._ZN9rocsolver6v33100L11stedc_copyDIdEEviPT_lS3_l,"axG",@progbits,_ZN9rocsolver6v33100L11stedc_copyDIdEEviPT_lS3_l,comdat
.Lfunc_end52:
	.size	_ZN9rocsolver6v33100L11stedc_copyDIdEEviPT_lS3_l, .Lfunc_end52-_ZN9rocsolver6v33100L11stedc_copyDIdEEviPT_lS3_l
                                        ; -- End function
	.section	.AMDGPU.csdata,"",@progbits
; Kernel info:
; codeLenInByte = 2356
; NumSgprs: 61
; NumVgprs: 66
; NumAgprs: 0
; TotalNumVgprs: 66
; ScratchSize: 0
; MemoryBound: 0
; FloatMode: 240
; IeeeMode: 1
; LDSByteSize: 0 bytes/workgroup (compile time only)
; SGPRBlocks: 7
; VGPRBlocks: 8
; NumSGPRsForWavesPerEU: 61
; NumVGPRsForWavesPerEU: 66
; AccumOffset: 68
; Occupancy: 7
; WaveLimiterHint : 0
; COMPUTE_PGM_RSRC2:SCRATCH_EN: 0
; COMPUTE_PGM_RSRC2:USER_SGPR: 6
; COMPUTE_PGM_RSRC2:TRAP_HANDLER: 0
; COMPUTE_PGM_RSRC2:TGID_X_EN: 1
; COMPUTE_PGM_RSRC2:TGID_Y_EN: 1
; COMPUTE_PGM_RSRC2:TGID_Z_EN: 0
; COMPUTE_PGM_RSRC2:TIDIG_COMP_CNT: 0
; COMPUTE_PGM_RSRC3_GFX90A:ACCUM_OFFSET: 16
; COMPUTE_PGM_RSRC3_GFX90A:TG_SPLIT: 0
	.section	.text._ZN9rocsolver6v33100L10stedc_sortIddPdS2_EEviPT0_lS4_lT1_iilT2_iil,"axG",@progbits,_ZN9rocsolver6v33100L10stedc_sortIddPdS2_EEviPT0_lS4_lT1_iilT2_iil,comdat
	.globl	_ZN9rocsolver6v33100L10stedc_sortIddPdS2_EEviPT0_lS4_lT1_iilT2_iil ; -- Begin function _ZN9rocsolver6v33100L10stedc_sortIddPdS2_EEviPT0_lS4_lT1_iilT2_iil
	.p2align	8
	.type	_ZN9rocsolver6v33100L10stedc_sortIddPdS2_EEviPT0_lS4_lT1_iilT2_iil,@function
_ZN9rocsolver6v33100L10stedc_sortIddPdS2_EEviPT0_lS4_lT1_iilT2_iil: ; @_ZN9rocsolver6v33100L10stedc_sortIddPdS2_EEviPT0_lS4_lT1_iilT2_iil
; %bb.0:
	s_load_dwordx8 s[36:43], s[4:5], 0x8
	s_ashr_i32 s66, s7, 31
	s_load_dword s2, s[4:5], 0x64
	s_mov_b32 s33, s7
	s_load_dword s54, s[4:5], 0x0
	s_waitcnt lgkmcnt(0)
	s_mul_i32 s0, s7, s39
	s_mul_hi_u32 s1, s7, s38
	s_add_i32 s0, s1, s0
	s_mul_i32 s1, s66, s38
	s_add_i32 s1, s0, s1
	s_mul_i32 s0, s7, s38
	s_lshl_b64 s[0:1], s[0:1], 3
	s_add_u32 s67, s36, s0
	s_addc_u32 s68, s37, s1
	s_ashr_i32 s7, s6, 31
	s_lshl_b64 s[44:45], s[6:7], 3
	s_add_u32 s0, s67, s44
	s_addc_u32 s1, s68, s45
	s_and_b32 s52, s2, 0xffff
	s_lshl_b32 s53, s52, 4
	v_cvt_f32_u32_e32 v1, s53
	s_sub_i32 s2, 0, s53
	s_load_dwordx2 s[38:39], s[4:5], 0x28
	s_load_dwordx2 s[46:47], s[0:1], 0x0
	s_add_i32 s0, s54, -1
	v_rcp_iflag_f32_e32 v1, v1
	s_ashr_i32 s1, s0, 31
	s_abs_i32 s0, s0
	v_mov_b32_e32 v34, 0
	v_mul_f32_e32 v1, 0x4f7ffffe, v1
	v_cvt_u32_f32_e32 v1, v1
	s_mul_i32 s55, s52, 3
	s_mul_i32 s56, s52, 5
	;; [unrolled: 1-line block ×3, first 2 shown]
	v_readfirstlane_b32 s3, v1
	s_mul_i32 s2, s2, s3
	s_mul_hi_u32 s2, s3, s2
	s_add_i32 s3, s3, s2
	s_mul_hi_u32 s2, s0, s3
	s_mul_i32 s3, s2, s53
	s_sub_i32 s0, s0, s3
	s_add_i32 s3, s2, 1
	s_sub_i32 s7, s0, s53
	s_cmp_ge_u32 s0, s53
	s_cselect_b32 s2, s3, s2
	s_cselect_b32 s0, s7, s0
	s_add_i32 s3, s2, 1
	s_cmp_ge_u32 s0, s53
	s_cselect_b32 s0, s3, s2
	s_xor_b32 s0, s0, s1
	s_sub_i32 s7, s0, s1
	s_cmp_gt_i32 s7, -1
	s_cselect_b64 s[48:49], -1, 0
	s_cmp_lt_i32 s7, 0
	s_mul_i32 s58, s52, 7
	s_mul_i32 s59, s52, 9
	;; [unrolled: 1-line block ×8, first 2 shown]
	s_cbranch_scc1 .LBB53_67
; %bb.1:
	s_add_i32 s69, s7, 1
	s_lshl_b32 s70, s52, 1
	s_lshl_b32 s71, s52, 2
	;; [unrolled: 1-line block ×3, first 2 shown]
	v_mov_b32_e32 v1, 0
	v_mov_b32_e32 v34, v0
	;; [unrolled: 1-line block ×4, first 2 shown]
                                        ; implicit-def: $vgpr2_vgpr3_vgpr4_vgpr5_vgpr6_vgpr7_vgpr8_vgpr9_vgpr10_vgpr11_vgpr12_vgpr13_vgpr14_vgpr15_vgpr16_vgpr17_vgpr18_vgpr19_vgpr20_vgpr21_vgpr22_vgpr23_vgpr24_vgpr25_vgpr26_vgpr27_vgpr28_vgpr29_vgpr30_vgpr31_vgpr32_vgpr33
	s_branch .LBB53_3
.LBB53_2:                               ;   in Loop: Header=BB53_3 Depth=1
	s_or_b64 exec, exec, s[2:3]
	s_add_i32 s69, s69, -1
	s_cmp_eq_u32 s69, 0
	v_add_u32_e32 v34, s53, v34
	s_cbranch_scc1 .LBB53_68
.LBB53_3:                               ; =>This Inner Loop Header: Depth=1
	v_cmp_gt_i32_e32 vcc, s54, v34
	s_and_saveexec_b64 s[2:3], vcc
	s_cbranch_execz .LBB53_5
; %bb.4:                                ;   in Loop: Header=BB53_3 Depth=1
	v_ashrrev_i32_e32 v35, 31, v34
	s_waitcnt vmcnt(0)
	v_lshlrev_b64 v[2:3], 3, v[34:35]
	v_mov_b32_e32 v35, s68
	v_add_co_u32_e64 v2, s[0:1], s67, v2
	v_addc_co_u32_e64 v3, s[0:1], v35, v3, s[0:1]
	global_load_dwordx2 v[2:3], v[2:3], off
.LBB53_5:                               ;   in Loop: Header=BB53_3 Depth=1
	s_or_b64 exec, exec, s[2:3]
	v_add_u32_e32 v36, s52, v34
	v_cmp_gt_i32_e64 s[0:1], s54, v36
	s_and_saveexec_b64 s[8:9], s[0:1]
	s_cbranch_execz .LBB53_7
; %bb.6:                                ;   in Loop: Header=BB53_3 Depth=1
	v_ashrrev_i32_e32 v37, 31, v36
	s_waitcnt vmcnt(0)
	v_lshlrev_b64 v[4:5], 3, v[36:37]
	v_mov_b32_e32 v35, s68
	v_add_co_u32_e64 v4, s[2:3], s67, v4
	v_addc_co_u32_e64 v5, s[2:3], v35, v5, s[2:3]
	global_load_dwordx2 v[4:5], v[4:5], off
.LBB53_7:                               ;   in Loop: Header=BB53_3 Depth=1
	s_or_b64 exec, exec, s[8:9]
	v_add_u32_e32 v38, s70, v34
	v_cmp_gt_i32_e64 s[2:3], s54, v38
	s_and_saveexec_b64 s[10:11], s[2:3]
	;; [unrolled: 14-line block ×3, first 2 shown]
	s_cbranch_execz .LBB53_11
; %bb.10:                               ;   in Loop: Header=BB53_3 Depth=1
	v_ashrrev_i32_e32 v41, 31, v40
	s_waitcnt vmcnt(0)
	v_lshlrev_b64 v[8:9], 3, v[40:41]
	v_mov_b32_e32 v35, s68
	v_add_co_u32_e64 v8, s[10:11], s67, v8
	v_addc_co_u32_e64 v9, s[10:11], v35, v9, s[10:11]
	global_load_dwordx2 v[8:9], v[8:9], off
.LBB53_11:                              ;   in Loop: Header=BB53_3 Depth=1
	s_or_b64 exec, exec, s[12:13]
	v_add_u32_e32 v42, s71, v34
	v_cmp_gt_i32_e64 s[10:11], s54, v42
	s_and_saveexec_b64 s[14:15], s[10:11]
	s_cbranch_execz .LBB53_13
; %bb.12:                               ;   in Loop: Header=BB53_3 Depth=1
	v_ashrrev_i32_e32 v43, 31, v42
	s_waitcnt vmcnt(0)
	v_lshlrev_b64 v[10:11], 3, v[42:43]
	v_mov_b32_e32 v35, s68
	v_add_co_u32_e64 v10, s[12:13], s67, v10
	v_addc_co_u32_e64 v11, s[12:13], v35, v11, s[12:13]
	global_load_dwordx2 v[10:11], v[10:11], off
.LBB53_13:                              ;   in Loop: Header=BB53_3 Depth=1
	s_or_b64 exec, exec, s[14:15]
	v_add_u32_e32 v44, s56, v34
	v_cmp_gt_i32_e64 s[12:13], s54, v44
	s_and_saveexec_b64 s[16:17], s[12:13]
	;; [unrolled: 14-line block ×12, first 2 shown]
	s_cbranch_execnz .LBB53_50
; %bb.34:                               ;   in Loop: Header=BB53_3 Depth=1
	s_or_b64 exec, exec, s[50:51]
	s_and_saveexec_b64 s[50:51], vcc
	s_cbranch_execnz .LBB53_51
.LBB53_35:                              ;   in Loop: Header=BB53_3 Depth=1
	s_or_b64 exec, exec, s[50:51]
	s_and_saveexec_b64 s[36:37], s[0:1]
	s_cbranch_execnz .LBB53_52
.LBB53_36:                              ;   in Loop: Header=BB53_3 Depth=1
	s_or_b64 exec, exec, s[36:37]
	s_and_saveexec_b64 s[36:37], s[2:3]
	s_cbranch_execnz .LBB53_53
.LBB53_37:                              ;   in Loop: Header=BB53_3 Depth=1
	s_or_b64 exec, exec, s[36:37]
	s_and_saveexec_b64 s[2:3], s[8:9]
	s_cbranch_execnz .LBB53_54
.LBB53_38:                              ;   in Loop: Header=BB53_3 Depth=1
	s_or_b64 exec, exec, s[2:3]
	s_and_saveexec_b64 s[2:3], s[10:11]
	s_cbranch_execnz .LBB53_55
.LBB53_39:                              ;   in Loop: Header=BB53_3 Depth=1
	s_or_b64 exec, exec, s[2:3]
	s_and_saveexec_b64 s[2:3], s[12:13]
	s_cbranch_execnz .LBB53_56
.LBB53_40:                              ;   in Loop: Header=BB53_3 Depth=1
	s_or_b64 exec, exec, s[2:3]
	s_and_saveexec_b64 s[2:3], s[14:15]
	s_cbranch_execnz .LBB53_57
.LBB53_41:                              ;   in Loop: Header=BB53_3 Depth=1
	s_or_b64 exec, exec, s[2:3]
	s_and_saveexec_b64 s[2:3], s[16:17]
	s_cbranch_execnz .LBB53_58
.LBB53_42:                              ;   in Loop: Header=BB53_3 Depth=1
	s_or_b64 exec, exec, s[2:3]
	s_and_saveexec_b64 s[2:3], s[18:19]
	s_cbranch_execnz .LBB53_59
.LBB53_43:                              ;   in Loop: Header=BB53_3 Depth=1
	s_or_b64 exec, exec, s[2:3]
	s_and_saveexec_b64 s[2:3], s[20:21]
	s_cbranch_execnz .LBB53_60
.LBB53_44:                              ;   in Loop: Header=BB53_3 Depth=1
	s_or_b64 exec, exec, s[2:3]
	s_and_saveexec_b64 s[2:3], s[22:23]
	s_cbranch_execnz .LBB53_61
.LBB53_45:                              ;   in Loop: Header=BB53_3 Depth=1
	s_or_b64 exec, exec, s[2:3]
	s_and_saveexec_b64 s[2:3], s[24:25]
	s_cbranch_execnz .LBB53_62
.LBB53_46:                              ;   in Loop: Header=BB53_3 Depth=1
	s_or_b64 exec, exec, s[2:3]
	s_and_saveexec_b64 s[2:3], s[26:27]
	s_cbranch_execnz .LBB53_63
.LBB53_47:                              ;   in Loop: Header=BB53_3 Depth=1
	s_or_b64 exec, exec, s[2:3]
	s_and_saveexec_b64 s[2:3], s[28:29]
	s_cbranch_execnz .LBB53_64
.LBB53_48:                              ;   in Loop: Header=BB53_3 Depth=1
	s_or_b64 exec, exec, s[2:3]
	s_and_saveexec_b64 s[2:3], s[30:31]
	s_cbranch_execnz .LBB53_65
.LBB53_49:                              ;   in Loop: Header=BB53_3 Depth=1
	s_or_b64 exec, exec, s[2:3]
	s_and_saveexec_b64 s[2:3], s[34:35]
	s_cbranch_execz .LBB53_2
	s_branch .LBB53_66
.LBB53_50:                              ;   in Loop: Header=BB53_3 Depth=1
	v_ashrrev_i32_e32 v65, 31, v64
	s_waitcnt vmcnt(0)
	v_lshlrev_b64 v[32:33], 3, v[64:65]
	v_mov_b32_e32 v35, s68
	v_add_co_u32_e64 v32, s[36:37], s67, v32
	v_addc_co_u32_e64 v33, s[36:37], v35, v33, s[36:37]
	global_load_dwordx2 v[32:33], v[32:33], off
	s_or_b64 exec, exec, s[50:51]
	s_and_saveexec_b64 s[50:51], vcc
	s_cbranch_execz .LBB53_35
.LBB53_51:                              ;   in Loop: Header=BB53_3 Depth=1
	s_waitcnt vmcnt(0)
	v_cmp_u_f64_e32 vcc, v[2:3], v[2:3]
	v_addc_co_u32_e32 v1, vcc, 0, v1, vcc
	s_waitcnt lgkmcnt(0)
	v_cmp_gt_f64_e32 vcc, s[46:47], v[2:3]
	v_addc_co_u32_e32 v66, vcc, 0, v66, vcc
	v_cmp_eq_f64_e32 vcc, s[46:47], v[2:3]
	v_cmp_gt_i32_e64 s[36:37], s6, v34
	s_and_b64 vcc, vcc, s[36:37]
	v_addc_co_u32_e32 v67, vcc, 0, v67, vcc
	s_or_b64 exec, exec, s[50:51]
	s_and_saveexec_b64 s[36:37], s[0:1]
	s_cbranch_execz .LBB53_36
.LBB53_52:                              ;   in Loop: Header=BB53_3 Depth=1
	s_waitcnt vmcnt(0)
	v_cmp_u_f64_e32 vcc, v[4:5], v[4:5]
	v_addc_co_u32_e32 v1, vcc, 0, v1, vcc
	s_waitcnt lgkmcnt(0)
	v_cmp_gt_f64_e32 vcc, s[46:47], v[4:5]
	v_addc_co_u32_e32 v66, vcc, 0, v66, vcc
	v_cmp_eq_f64_e32 vcc, s[46:47], v[4:5]
	v_cmp_gt_i32_e64 s[0:1], s6, v36
	s_and_b64 vcc, vcc, s[0:1]
	v_addc_co_u32_e32 v67, vcc, 0, v67, vcc
	s_or_b64 exec, exec, s[36:37]
	s_and_saveexec_b64 s[36:37], s[2:3]
	s_cbranch_execz .LBB53_37
.LBB53_53:                              ;   in Loop: Header=BB53_3 Depth=1
	s_waitcnt vmcnt(0)
	v_cmp_u_f64_e32 vcc, v[6:7], v[6:7]
	v_addc_co_u32_e32 v1, vcc, 0, v1, vcc
	s_waitcnt lgkmcnt(0)
	v_cmp_gt_f64_e32 vcc, s[46:47], v[6:7]
	v_addc_co_u32_e32 v66, vcc, 0, v66, vcc
	v_cmp_eq_f64_e32 vcc, s[46:47], v[6:7]
	v_cmp_gt_i32_e64 s[0:1], s6, v38
	s_and_b64 vcc, vcc, s[0:1]
	v_addc_co_u32_e32 v67, vcc, 0, v67, vcc
	s_or_b64 exec, exec, s[36:37]
	s_and_saveexec_b64 s[2:3], s[8:9]
	s_cbranch_execz .LBB53_38
.LBB53_54:                              ;   in Loop: Header=BB53_3 Depth=1
	s_waitcnt vmcnt(0)
	v_cmp_u_f64_e32 vcc, v[8:9], v[8:9]
	v_addc_co_u32_e32 v1, vcc, 0, v1, vcc
	s_waitcnt lgkmcnt(0)
	v_cmp_gt_f64_e32 vcc, s[46:47], v[8:9]
	v_addc_co_u32_e32 v66, vcc, 0, v66, vcc
	v_cmp_eq_f64_e32 vcc, s[46:47], v[8:9]
	v_cmp_gt_i32_e64 s[0:1], s6, v40
	s_and_b64 vcc, vcc, s[0:1]
	v_addc_co_u32_e32 v67, vcc, 0, v67, vcc
	s_or_b64 exec, exec, s[2:3]
	s_and_saveexec_b64 s[2:3], s[10:11]
	s_cbranch_execz .LBB53_39
.LBB53_55:                              ;   in Loop: Header=BB53_3 Depth=1
	s_waitcnt vmcnt(0)
	v_cmp_u_f64_e32 vcc, v[10:11], v[10:11]
	v_addc_co_u32_e32 v1, vcc, 0, v1, vcc
	s_waitcnt lgkmcnt(0)
	v_cmp_gt_f64_e32 vcc, s[46:47], v[10:11]
	v_addc_co_u32_e32 v66, vcc, 0, v66, vcc
	v_cmp_eq_f64_e32 vcc, s[46:47], v[10:11]
	v_cmp_gt_i32_e64 s[0:1], s6, v42
	s_and_b64 vcc, vcc, s[0:1]
	v_addc_co_u32_e32 v67, vcc, 0, v67, vcc
	s_or_b64 exec, exec, s[2:3]
	s_and_saveexec_b64 s[2:3], s[12:13]
	s_cbranch_execz .LBB53_40
.LBB53_56:                              ;   in Loop: Header=BB53_3 Depth=1
	s_waitcnt vmcnt(0)
	v_cmp_u_f64_e32 vcc, v[12:13], v[12:13]
	v_addc_co_u32_e32 v1, vcc, 0, v1, vcc
	s_waitcnt lgkmcnt(0)
	v_cmp_gt_f64_e32 vcc, s[46:47], v[12:13]
	v_addc_co_u32_e32 v66, vcc, 0, v66, vcc
	v_cmp_eq_f64_e32 vcc, s[46:47], v[12:13]
	v_cmp_gt_i32_e64 s[0:1], s6, v44
	s_and_b64 vcc, vcc, s[0:1]
	v_addc_co_u32_e32 v67, vcc, 0, v67, vcc
	s_or_b64 exec, exec, s[2:3]
	s_and_saveexec_b64 s[2:3], s[14:15]
	s_cbranch_execz .LBB53_41
.LBB53_57:                              ;   in Loop: Header=BB53_3 Depth=1
	s_waitcnt vmcnt(0)
	v_cmp_u_f64_e32 vcc, v[14:15], v[14:15]
	v_addc_co_u32_e32 v1, vcc, 0, v1, vcc
	s_waitcnt lgkmcnt(0)
	v_cmp_gt_f64_e32 vcc, s[46:47], v[14:15]
	v_addc_co_u32_e32 v66, vcc, 0, v66, vcc
	v_cmp_eq_f64_e32 vcc, s[46:47], v[14:15]
	v_cmp_gt_i32_e64 s[0:1], s6, v46
	s_and_b64 vcc, vcc, s[0:1]
	v_addc_co_u32_e32 v67, vcc, 0, v67, vcc
	s_or_b64 exec, exec, s[2:3]
	s_and_saveexec_b64 s[2:3], s[16:17]
	s_cbranch_execz .LBB53_42
.LBB53_58:                              ;   in Loop: Header=BB53_3 Depth=1
	s_waitcnt vmcnt(0)
	v_cmp_u_f64_e32 vcc, v[16:17], v[16:17]
	v_addc_co_u32_e32 v1, vcc, 0, v1, vcc
	s_waitcnt lgkmcnt(0)
	v_cmp_gt_f64_e32 vcc, s[46:47], v[16:17]
	v_addc_co_u32_e32 v66, vcc, 0, v66, vcc
	v_cmp_eq_f64_e32 vcc, s[46:47], v[16:17]
	v_cmp_gt_i32_e64 s[0:1], s6, v48
	s_and_b64 vcc, vcc, s[0:1]
	v_addc_co_u32_e32 v67, vcc, 0, v67, vcc
	s_or_b64 exec, exec, s[2:3]
	s_and_saveexec_b64 s[2:3], s[18:19]
	s_cbranch_execz .LBB53_43
.LBB53_59:                              ;   in Loop: Header=BB53_3 Depth=1
	s_waitcnt vmcnt(0)
	v_cmp_u_f64_e32 vcc, v[18:19], v[18:19]
	v_addc_co_u32_e32 v1, vcc, 0, v1, vcc
	s_waitcnt lgkmcnt(0)
	v_cmp_gt_f64_e32 vcc, s[46:47], v[18:19]
	v_addc_co_u32_e32 v66, vcc, 0, v66, vcc
	v_cmp_eq_f64_e32 vcc, s[46:47], v[18:19]
	v_cmp_gt_i32_e64 s[0:1], s6, v50
	s_and_b64 vcc, vcc, s[0:1]
	v_addc_co_u32_e32 v67, vcc, 0, v67, vcc
	s_or_b64 exec, exec, s[2:3]
	s_and_saveexec_b64 s[2:3], s[20:21]
	s_cbranch_execz .LBB53_44
.LBB53_60:                              ;   in Loop: Header=BB53_3 Depth=1
	s_waitcnt vmcnt(0)
	v_cmp_u_f64_e32 vcc, v[20:21], v[20:21]
	v_addc_co_u32_e32 v1, vcc, 0, v1, vcc
	s_waitcnt lgkmcnt(0)
	v_cmp_gt_f64_e32 vcc, s[46:47], v[20:21]
	v_addc_co_u32_e32 v66, vcc, 0, v66, vcc
	v_cmp_eq_f64_e32 vcc, s[46:47], v[20:21]
	v_cmp_gt_i32_e64 s[0:1], s6, v52
	s_and_b64 vcc, vcc, s[0:1]
	v_addc_co_u32_e32 v67, vcc, 0, v67, vcc
	s_or_b64 exec, exec, s[2:3]
	s_and_saveexec_b64 s[2:3], s[22:23]
	s_cbranch_execz .LBB53_45
.LBB53_61:                              ;   in Loop: Header=BB53_3 Depth=1
	s_waitcnt vmcnt(0)
	v_cmp_u_f64_e32 vcc, v[22:23], v[22:23]
	v_addc_co_u32_e32 v1, vcc, 0, v1, vcc
	s_waitcnt lgkmcnt(0)
	v_cmp_gt_f64_e32 vcc, s[46:47], v[22:23]
	v_addc_co_u32_e32 v66, vcc, 0, v66, vcc
	v_cmp_eq_f64_e32 vcc, s[46:47], v[22:23]
	v_cmp_gt_i32_e64 s[0:1], s6, v54
	s_and_b64 vcc, vcc, s[0:1]
	v_addc_co_u32_e32 v67, vcc, 0, v67, vcc
	s_or_b64 exec, exec, s[2:3]
	s_and_saveexec_b64 s[2:3], s[24:25]
	s_cbranch_execz .LBB53_46
.LBB53_62:                              ;   in Loop: Header=BB53_3 Depth=1
	s_waitcnt vmcnt(0)
	v_cmp_u_f64_e32 vcc, v[24:25], v[24:25]
	v_addc_co_u32_e32 v1, vcc, 0, v1, vcc
	s_waitcnt lgkmcnt(0)
	v_cmp_gt_f64_e32 vcc, s[46:47], v[24:25]
	v_addc_co_u32_e32 v66, vcc, 0, v66, vcc
	v_cmp_eq_f64_e32 vcc, s[46:47], v[24:25]
	v_cmp_gt_i32_e64 s[0:1], s6, v56
	s_and_b64 vcc, vcc, s[0:1]
	v_addc_co_u32_e32 v67, vcc, 0, v67, vcc
	s_or_b64 exec, exec, s[2:3]
	s_and_saveexec_b64 s[2:3], s[26:27]
	s_cbranch_execz .LBB53_47
.LBB53_63:                              ;   in Loop: Header=BB53_3 Depth=1
	s_waitcnt vmcnt(0)
	v_cmp_u_f64_e32 vcc, v[26:27], v[26:27]
	v_addc_co_u32_e32 v1, vcc, 0, v1, vcc
	s_waitcnt lgkmcnt(0)
	v_cmp_gt_f64_e32 vcc, s[46:47], v[26:27]
	v_addc_co_u32_e32 v66, vcc, 0, v66, vcc
	v_cmp_eq_f64_e32 vcc, s[46:47], v[26:27]
	v_cmp_gt_i32_e64 s[0:1], s6, v58
	s_and_b64 vcc, vcc, s[0:1]
	v_addc_co_u32_e32 v67, vcc, 0, v67, vcc
	s_or_b64 exec, exec, s[2:3]
	s_and_saveexec_b64 s[2:3], s[28:29]
	s_cbranch_execz .LBB53_48
.LBB53_64:                              ;   in Loop: Header=BB53_3 Depth=1
	s_waitcnt vmcnt(0)
	v_cmp_u_f64_e32 vcc, v[28:29], v[28:29]
	v_addc_co_u32_e32 v1, vcc, 0, v1, vcc
	s_waitcnt lgkmcnt(0)
	v_cmp_gt_f64_e32 vcc, s[46:47], v[28:29]
	v_addc_co_u32_e32 v66, vcc, 0, v66, vcc
	v_cmp_eq_f64_e32 vcc, s[46:47], v[28:29]
	v_cmp_gt_i32_e64 s[0:1], s6, v60
	s_and_b64 vcc, vcc, s[0:1]
	v_addc_co_u32_e32 v67, vcc, 0, v67, vcc
	s_or_b64 exec, exec, s[2:3]
	s_and_saveexec_b64 s[2:3], s[30:31]
	s_cbranch_execz .LBB53_49
.LBB53_65:                              ;   in Loop: Header=BB53_3 Depth=1
	s_waitcnt vmcnt(0)
	v_cmp_u_f64_e32 vcc, v[30:31], v[30:31]
	v_addc_co_u32_e32 v1, vcc, 0, v1, vcc
	s_waitcnt lgkmcnt(0)
	v_cmp_gt_f64_e32 vcc, s[46:47], v[30:31]
	v_addc_co_u32_e32 v66, vcc, 0, v66, vcc
	v_cmp_eq_f64_e32 vcc, s[46:47], v[30:31]
	v_cmp_gt_i32_e64 s[0:1], s6, v62
	s_and_b64 vcc, vcc, s[0:1]
	v_addc_co_u32_e32 v67, vcc, 0, v67, vcc
	s_or_b64 exec, exec, s[2:3]
	s_and_saveexec_b64 s[2:3], s[34:35]
	s_cbranch_execz .LBB53_2
.LBB53_66:                              ;   in Loop: Header=BB53_3 Depth=1
	s_waitcnt vmcnt(0)
	v_cmp_u_f64_e32 vcc, v[32:33], v[32:33]
	v_addc_co_u32_e32 v1, vcc, 0, v1, vcc
	s_waitcnt lgkmcnt(0)
	v_cmp_gt_f64_e32 vcc, s[46:47], v[32:33]
	v_addc_co_u32_e32 v66, vcc, 0, v66, vcc
	v_cmp_eq_f64_e32 vcc, s[46:47], v[32:33]
	v_cmp_gt_i32_e64 s[0:1], s6, v64
	s_and_b64 vcc, vcc, s[0:1]
	v_addc_co_u32_e32 v67, vcc, 0, v67, vcc
	s_branch .LBB53_2
.LBB53_67:
	s_mov_b64 s[0:1], -1
                                        ; implicit-def: $vgpr2_vgpr3_vgpr4_vgpr5_vgpr6_vgpr7_vgpr8_vgpr9_vgpr10_vgpr11_vgpr12_vgpr13_vgpr14_vgpr15_vgpr16_vgpr17_vgpr18_vgpr19_vgpr20_vgpr21_vgpr22_vgpr23_vgpr24_vgpr25_vgpr26_vgpr27_vgpr28_vgpr29_vgpr30_vgpr31_vgpr32_vgpr33
	v_lshlrev_b32_e32 v1, 2, v0
	s_cmp_lt_u32 s52, 2
	ds_write_b32 v1, v34
	s_cbranch_scc0 .LBB53_69
	s_branch .LBB53_73
.LBB53_68:
	v_add_u32_e32 v34, v66, v67
	v_cmp_eq_u32_e64 s[0:1], 0, v1
	v_lshlrev_b32_e32 v1, 2, v0
	s_cmp_lt_u32 s52, 2
	ds_write_b32 v1, v34
	s_cbranch_scc1 .LBB53_73
.LBB53_69:
	s_mov_b32 s8, s52
	s_branch .LBB53_71
.LBB53_70:                              ;   in Loop: Header=BB53_71 Depth=1
	s_or_b64 exec, exec, s[2:3]
	s_cmp_lt_u32 s8, 4
	s_mov_b32 s8, s9
	s_cbranch_scc1 .LBB53_73
.LBB53_71:                              ; =>This Inner Loop Header: Depth=1
	s_lshr_b32 s9, s8, 1
	v_cmp_gt_u32_e32 vcc, s9, v0
	s_waitcnt lgkmcnt(0)
	s_barrier
	s_and_saveexec_b64 s[2:3], vcc
	s_cbranch_execz .LBB53_70
; %bb.72:                               ;   in Loop: Header=BB53_71 Depth=1
	v_lshl_add_u32 v35, s9, 2, v1
	ds_read_b32 v35, v35
	s_waitcnt lgkmcnt(0)
	v_add_u32_e32 v34, v35, v34
	ds_write_b32 v1, v34
	s_branch .LBB53_70
.LBB53_73:
	v_mov_b32_e32 v1, 0
	s_xor_b64 s[2:3], s[0:1], -1
	s_mul_i32 s0, s33, s43
	s_mul_hi_u32 s1, s33, s42
	s_waitcnt lgkmcnt(0)
	s_barrier
	ds_read_b32 v34, v1
	s_add_i32 s0, s1, s0
	s_mul_i32 s1, s66, s42
	s_add_i32 s1, s0, s1
	s_mul_i32 s0, s33, s42
	s_lshl_b64 s[0:1], s[0:1], 3
	s_add_u32 s10, s40, s0
	s_addc_u32 s11, s41, s1
	s_waitcnt lgkmcnt(0)
	v_readfirstlane_b32 s0, v34
	v_cmp_eq_u32_e32 vcc, 0, v0
	s_and_saveexec_b64 s[8:9], vcc
	s_cbranch_execnz .LBB53_76
; %bb.74:
	s_or_b64 exec, exec, s[8:9]
	s_and_saveexec_b64 s[8:9], s[2:3]
	s_cbranch_execnz .LBB53_77
.LBB53_75:
	s_or_b64 exec, exec, s[8:9]
	s_andn2_b64 vcc, exec, s[48:49]
	s_cbranch_vccz .LBB53_78
	s_branch .LBB53_144
.LBB53_76:
	s_ashr_i32 s1, s0, 31
	s_lshl_b64 s[12:13], s[0:1], 3
	s_add_u32 s12, s10, s12
	s_addc_u32 s13, s11, s13
	v_pk_mov_b32 v[34:35], s[46:47], s[46:47] op_sel:[0,1]
	global_store_dwordx2 v1, v[34:35], s[12:13]
	s_or_b64 exec, exec, s[8:9]
	s_and_saveexec_b64 s[8:9], s[2:3]
	s_cbranch_execz .LBB53_75
.LBB53_77:
	s_add_u32 s2, s10, s44
	s_addc_u32 s3, s11, s45
	v_mov_b32_e32 v34, 0
	v_mov_b32_e32 v35, 0x7ff80000
	global_store_dwordx2 v34, v[34:35], s[2:3]
	s_or_b64 exec, exec, s[8:9]
	s_andn2_b64 vcc, exec, s[48:49]
	s_cbranch_vccnz .LBB53_144
.LBB53_78:
	s_load_dwordx2 s[2:3], s[4:5], 0x30
	s_load_dwordx8 s[8:15], s[4:5], 0x38
	s_waitcnt lgkmcnt(0)
	s_ashr_i32 s5, s2, 31
	s_mov_b32 s4, s2
	s_mul_i32 s1, s33, s9
	s_mul_hi_u32 s2, s33, s8
	s_add_i32 s1, s2, s1
	s_mul_i32 s2, s66, s8
	s_add_i32 s9, s1, s2
	s_mul_i32 s8, s33, s8
	s_lshl_b64 s[8:9], s[8:9], 3
	s_add_u32 s1, s38, s8
	s_addc_u32 s2, s39, s9
	s_lshl_b64 s[4:5], s[4:5], 3
	s_add_u32 s1, s1, s4
	s_addc_u32 s16, s2, s5
	s_mul_i32 s2, s33, s15
	s_mul_hi_u32 s8, s33, s14
	s_add_i32 s2, s8, s2
	s_mul_i32 s8, s66, s14
	s_add_i32 s9, s2, s8
	s_mul_i32 s8, s33, s14
	s_ashr_i32 s5, s12, 31
	s_lshl_b64 s[8:9], s[8:9], 3
	s_mov_b32 s4, s12
	s_add_u32 s2, s10, s8
	s_addc_u32 s8, s11, s9
	s_lshl_b64 s[4:5], s[4:5], 3
	s_add_u32 s4, s2, s4
	s_mul_i32 s2, s6, s3
	s_addc_u32 s5, s8, s5
	s_ashr_i32 s3, s2, 31
	s_lshl_b64 s[2:3], s[2:3], 3
	s_add_u32 s33, s1, s2
	s_mul_i32 s0, s0, s13
	s_addc_u32 s36, s16, s3
	s_ashr_i32 s1, s0, 31
	s_lshl_b64 s[0:1], s[0:1], 3
	s_add_u32 s37, s4, s0
	s_addc_u32 s38, s5, s1
	s_add_i32 s39, s7, 1
	s_lshl_b32 s40, s52, 1
	s_lshl_b32 s41, s52, 2
	;; [unrolled: 1-line block ×3, first 2 shown]
	s_branch .LBB53_80
.LBB53_79:                              ;   in Loop: Header=BB53_80 Depth=1
	s_or_b64 exec, exec, s[0:1]
	s_add_i32 s39, s39, -1
	s_cmp_eq_u32 s39, 0
	v_add_u32_e32 v0, s53, v0
	s_cbranch_scc1 .LBB53_144
.LBB53_80:                              ; =>This Inner Loop Header: Depth=1
	v_cmp_gt_i32_e32 vcc, s54, v0
	v_ashrrev_i32_e32 v1, 31, v0
	s_and_saveexec_b64 s[2:3], vcc
	s_cbranch_execz .LBB53_82
; %bb.81:                               ;   in Loop: Header=BB53_80 Depth=1
	s_waitcnt vmcnt(0)
	v_lshlrev_b64 v[2:3], 3, v[0:1]
	v_mov_b32_e32 v34, s36
	v_add_co_u32_e64 v2, s[0:1], s33, v2
	v_addc_co_u32_e64 v3, s[0:1], v34, v3, s[0:1]
	global_load_dwordx2 v[2:3], v[2:3], off
.LBB53_82:                              ;   in Loop: Header=BB53_80 Depth=1
	s_or_b64 exec, exec, s[2:3]
	v_add_u32_e32 v34, s52, v0
	v_cmp_gt_i32_e64 s[0:1], s54, v34
	v_ashrrev_i32_e32 v35, 31, v34
	s_and_saveexec_b64 s[4:5], s[0:1]
	s_cbranch_execz .LBB53_84
; %bb.83:                               ;   in Loop: Header=BB53_80 Depth=1
	s_waitcnt vmcnt(0)
	v_lshlrev_b64 v[4:5], 3, v[34:35]
	v_mov_b32_e32 v36, s36
	v_add_co_u32_e64 v4, s[2:3], s33, v4
	v_addc_co_u32_e64 v5, s[2:3], v36, v5, s[2:3]
	global_load_dwordx2 v[4:5], v[4:5], off
.LBB53_84:                              ;   in Loop: Header=BB53_80 Depth=1
	s_or_b64 exec, exec, s[4:5]
	v_add_u32_e32 v36, s40, v0
	v_add_u32_e32 v39, s52, v34
	v_cmp_gt_i32_e64 s[2:3], s54, v39
	v_ashrrev_i32_e32 v37, 31, v36
	s_and_saveexec_b64 s[6:7], s[2:3]
	s_cbranch_execz .LBB53_86
; %bb.85:                               ;   in Loop: Header=BB53_80 Depth=1
	s_waitcnt vmcnt(0)
	v_lshlrev_b64 v[6:7], 3, v[36:37]
	v_mov_b32_e32 v38, s36
	v_add_co_u32_e64 v6, s[4:5], s33, v6
	v_addc_co_u32_e64 v7, s[4:5], v38, v7, s[4:5]
	global_load_dwordx2 v[6:7], v[6:7], off
.LBB53_86:                              ;   in Loop: Header=BB53_80 Depth=1
	s_or_b64 exec, exec, s[6:7]
	v_add_u32_e32 v38, s55, v0
	;; [unrolled: 15-line block ×8, first 2 shown]
	v_add_u32_e32 v53, s52, v51
	v_cmp_gt_i32_e64 s[16:17], s54, v53
	v_ashrrev_i32_e32 v51, 31, v50
	s_and_saveexec_b64 s[20:21], s[16:17]
	s_cbranch_execz .LBB53_100
; %bb.99:                               ;   in Loop: Header=BB53_80 Depth=1
	s_waitcnt vmcnt(0)
	v_lshlrev_b64 v[20:21], 3, v[50:51]
	v_mov_b32_e32 v52, s36
	v_add_co_u32_e64 v20, s[18:19], s33, v20
	v_addc_co_u32_e64 v21, s[18:19], v52, v21, s[18:19]
	global_load_dwordx2 v[20:21], v[20:21], off
.LBB53_100:                             ;   in Loop: Header=BB53_80 Depth=1
	s_or_b64 exec, exec, s[20:21]
	v_add_u32_e32 v52, s60, v0
	v_add_u32_e32 v55, s52, v53
	v_cmp_gt_i32_e64 s[18:19], s54, v55
	v_ashrrev_i32_e32 v53, 31, v52
	s_and_saveexec_b64 s[22:23], s[18:19]
	s_cbranch_execz .LBB53_102
; %bb.101:                              ;   in Loop: Header=BB53_80 Depth=1
	s_waitcnt vmcnt(0)
	v_lshlrev_b64 v[22:23], 3, v[52:53]
	v_mov_b32_e32 v54, s36
	v_add_co_u32_e64 v22, s[20:21], s33, v22
	v_addc_co_u32_e64 v23, s[20:21], v54, v23, s[20:21]
	global_load_dwordx2 v[22:23], v[22:23], off
.LBB53_102:                             ;   in Loop: Header=BB53_80 Depth=1
	s_or_b64 exec, exec, s[22:23]
	v_add_u32_e32 v54, s61, v0
	v_add_u32_e32 v57, s52, v55
	v_cmp_gt_i32_e64 s[20:21], s54, v57
	v_ashrrev_i32_e32 v55, 31, v54
	s_and_saveexec_b64 s[24:25], s[20:21]
	s_cbranch_execz .LBB53_104
; %bb.103:                              ;   in Loop: Header=BB53_80 Depth=1
	s_waitcnt vmcnt(0)
	v_lshlrev_b64 v[24:25], 3, v[54:55]
	v_mov_b32_e32 v56, s36
	v_add_co_u32_e64 v24, s[22:23], s33, v24
	v_addc_co_u32_e64 v25, s[22:23], v56, v25, s[22:23]
	global_load_dwordx2 v[24:25], v[24:25], off
.LBB53_104:                             ;   in Loop: Header=BB53_80 Depth=1
	;; [unrolled: 15-line block ×5, first 2 shown]
	s_or_b64 exec, exec, s[30:31]
	v_add_u32_e32 v62, s65, v0
	v_add_u32_e32 v63, s52, v63
	v_cmp_gt_i32_e64 s[28:29], s54, v63
	v_ashrrev_i32_e32 v63, 31, v62
	s_and_saveexec_b64 s[34:35], s[28:29]
	s_cbranch_execnz .LBB53_127
; %bb.111:                              ;   in Loop: Header=BB53_80 Depth=1
	s_or_b64 exec, exec, s[34:35]
	s_and_saveexec_b64 s[30:31], vcc
	s_cbranch_execnz .LBB53_128
.LBB53_112:                             ;   in Loop: Header=BB53_80 Depth=1
	s_or_b64 exec, exec, s[30:31]
	s_and_saveexec_b64 s[30:31], s[0:1]
	s_cbranch_execnz .LBB53_129
.LBB53_113:                             ;   in Loop: Header=BB53_80 Depth=1
	s_or_b64 exec, exec, s[30:31]
	s_and_saveexec_b64 s[0:1], s[2:3]
	s_cbranch_execnz .LBB53_130
.LBB53_114:                             ;   in Loop: Header=BB53_80 Depth=1
	s_or_b64 exec, exec, s[0:1]
	s_and_saveexec_b64 s[0:1], s[4:5]
	s_cbranch_execnz .LBB53_131
.LBB53_115:                             ;   in Loop: Header=BB53_80 Depth=1
	s_or_b64 exec, exec, s[0:1]
	s_and_saveexec_b64 s[0:1], s[6:7]
	s_cbranch_execnz .LBB53_132
.LBB53_116:                             ;   in Loop: Header=BB53_80 Depth=1
	s_or_b64 exec, exec, s[0:1]
	s_and_saveexec_b64 s[0:1], s[8:9]
	s_cbranch_execnz .LBB53_133
.LBB53_117:                             ;   in Loop: Header=BB53_80 Depth=1
	s_or_b64 exec, exec, s[0:1]
	s_and_saveexec_b64 s[0:1], s[10:11]
	s_cbranch_execnz .LBB53_134
.LBB53_118:                             ;   in Loop: Header=BB53_80 Depth=1
	s_or_b64 exec, exec, s[0:1]
	s_and_saveexec_b64 s[0:1], s[12:13]
	s_cbranch_execnz .LBB53_135
.LBB53_119:                             ;   in Loop: Header=BB53_80 Depth=1
	s_or_b64 exec, exec, s[0:1]
	s_and_saveexec_b64 s[0:1], s[14:15]
	s_cbranch_execnz .LBB53_136
.LBB53_120:                             ;   in Loop: Header=BB53_80 Depth=1
	s_or_b64 exec, exec, s[0:1]
	s_and_saveexec_b64 s[0:1], s[16:17]
	s_cbranch_execnz .LBB53_137
.LBB53_121:                             ;   in Loop: Header=BB53_80 Depth=1
	s_or_b64 exec, exec, s[0:1]
	s_and_saveexec_b64 s[0:1], s[18:19]
	s_cbranch_execnz .LBB53_138
.LBB53_122:                             ;   in Loop: Header=BB53_80 Depth=1
	s_or_b64 exec, exec, s[0:1]
	s_and_saveexec_b64 s[0:1], s[20:21]
	s_cbranch_execnz .LBB53_139
.LBB53_123:                             ;   in Loop: Header=BB53_80 Depth=1
	s_or_b64 exec, exec, s[0:1]
	s_and_saveexec_b64 s[0:1], s[22:23]
	s_cbranch_execnz .LBB53_140
.LBB53_124:                             ;   in Loop: Header=BB53_80 Depth=1
	s_or_b64 exec, exec, s[0:1]
	s_and_saveexec_b64 s[0:1], s[24:25]
	s_cbranch_execnz .LBB53_141
.LBB53_125:                             ;   in Loop: Header=BB53_80 Depth=1
	s_or_b64 exec, exec, s[0:1]
	s_and_saveexec_b64 s[0:1], s[26:27]
	s_cbranch_execnz .LBB53_142
.LBB53_126:                             ;   in Loop: Header=BB53_80 Depth=1
	s_or_b64 exec, exec, s[0:1]
	s_and_saveexec_b64 s[0:1], s[28:29]
	s_cbranch_execz .LBB53_79
	s_branch .LBB53_143
.LBB53_127:                             ;   in Loop: Header=BB53_80 Depth=1
	s_waitcnt vmcnt(0)
	v_lshlrev_b64 v[32:33], 3, v[62:63]
	v_mov_b32_e32 v64, s36
	v_add_co_u32_e64 v32, s[30:31], s33, v32
	v_addc_co_u32_e64 v33, s[30:31], v64, v33, s[30:31]
	global_load_dwordx2 v[32:33], v[32:33], off
	s_or_b64 exec, exec, s[34:35]
	s_and_saveexec_b64 s[30:31], vcc
	s_cbranch_execz .LBB53_112
.LBB53_128:                             ;   in Loop: Header=BB53_80 Depth=1
	v_lshlrev_b64 v[64:65], 3, v[0:1]
	v_mov_b32_e32 v1, s38
	v_add_co_u32_e32 v64, vcc, s37, v64
	v_addc_co_u32_e32 v65, vcc, v1, v65, vcc
	s_waitcnt vmcnt(0)
	global_store_dwordx2 v[64:65], v[2:3], off
	s_or_b64 exec, exec, s[30:31]
	s_and_saveexec_b64 s[30:31], s[0:1]
	s_cbranch_execz .LBB53_113
.LBB53_129:                             ;   in Loop: Header=BB53_80 Depth=1
	v_lshlrev_b64 v[34:35], 3, v[34:35]
	v_mov_b32_e32 v1, s38
	v_add_co_u32_e32 v34, vcc, s37, v34
	v_addc_co_u32_e32 v35, vcc, v1, v35, vcc
	s_waitcnt vmcnt(0)
	global_store_dwordx2 v[34:35], v[4:5], off
	s_or_b64 exec, exec, s[30:31]
	s_and_saveexec_b64 s[0:1], s[2:3]
	s_cbranch_execz .LBB53_114
.LBB53_130:                             ;   in Loop: Header=BB53_80 Depth=1
	v_lshlrev_b64 v[34:35], 3, v[36:37]
	v_mov_b32_e32 v1, s38
	v_add_co_u32_e32 v34, vcc, s37, v34
	v_addc_co_u32_e32 v35, vcc, v1, v35, vcc
	s_waitcnt vmcnt(0)
	global_store_dwordx2 v[34:35], v[6:7], off
	s_or_b64 exec, exec, s[0:1]
	s_and_saveexec_b64 s[0:1], s[4:5]
	s_cbranch_execz .LBB53_115
.LBB53_131:                             ;   in Loop: Header=BB53_80 Depth=1
	v_lshlrev_b64 v[34:35], 3, v[38:39]
	v_mov_b32_e32 v1, s38
	v_add_co_u32_e32 v34, vcc, s37, v34
	v_addc_co_u32_e32 v35, vcc, v1, v35, vcc
	s_waitcnt vmcnt(0)
	global_store_dwordx2 v[34:35], v[8:9], off
	s_or_b64 exec, exec, s[0:1]
	s_and_saveexec_b64 s[0:1], s[6:7]
	s_cbranch_execz .LBB53_116
.LBB53_132:                             ;   in Loop: Header=BB53_80 Depth=1
	v_lshlrev_b64 v[34:35], 3, v[40:41]
	v_mov_b32_e32 v1, s38
	v_add_co_u32_e32 v34, vcc, s37, v34
	v_addc_co_u32_e32 v35, vcc, v1, v35, vcc
	s_waitcnt vmcnt(0)
	global_store_dwordx2 v[34:35], v[10:11], off
	s_or_b64 exec, exec, s[0:1]
	s_and_saveexec_b64 s[0:1], s[8:9]
	s_cbranch_execz .LBB53_117
.LBB53_133:                             ;   in Loop: Header=BB53_80 Depth=1
	v_lshlrev_b64 v[34:35], 3, v[42:43]
	v_mov_b32_e32 v1, s38
	v_add_co_u32_e32 v34, vcc, s37, v34
	v_addc_co_u32_e32 v35, vcc, v1, v35, vcc
	s_waitcnt vmcnt(0)
	global_store_dwordx2 v[34:35], v[12:13], off
	s_or_b64 exec, exec, s[0:1]
	s_and_saveexec_b64 s[0:1], s[10:11]
	s_cbranch_execz .LBB53_118
.LBB53_134:                             ;   in Loop: Header=BB53_80 Depth=1
	v_lshlrev_b64 v[34:35], 3, v[44:45]
	v_mov_b32_e32 v1, s38
	v_add_co_u32_e32 v34, vcc, s37, v34
	v_addc_co_u32_e32 v35, vcc, v1, v35, vcc
	s_waitcnt vmcnt(0)
	global_store_dwordx2 v[34:35], v[14:15], off
	s_or_b64 exec, exec, s[0:1]
	s_and_saveexec_b64 s[0:1], s[12:13]
	s_cbranch_execz .LBB53_119
.LBB53_135:                             ;   in Loop: Header=BB53_80 Depth=1
	v_lshlrev_b64 v[34:35], 3, v[46:47]
	v_mov_b32_e32 v1, s38
	v_add_co_u32_e32 v34, vcc, s37, v34
	v_addc_co_u32_e32 v35, vcc, v1, v35, vcc
	s_waitcnt vmcnt(0)
	global_store_dwordx2 v[34:35], v[16:17], off
	s_or_b64 exec, exec, s[0:1]
	s_and_saveexec_b64 s[0:1], s[14:15]
	s_cbranch_execz .LBB53_120
.LBB53_136:                             ;   in Loop: Header=BB53_80 Depth=1
	v_lshlrev_b64 v[34:35], 3, v[48:49]
	v_mov_b32_e32 v1, s38
	v_add_co_u32_e32 v34, vcc, s37, v34
	v_addc_co_u32_e32 v35, vcc, v1, v35, vcc
	s_waitcnt vmcnt(0)
	global_store_dwordx2 v[34:35], v[18:19], off
	s_or_b64 exec, exec, s[0:1]
	s_and_saveexec_b64 s[0:1], s[16:17]
	s_cbranch_execz .LBB53_121
.LBB53_137:                             ;   in Loop: Header=BB53_80 Depth=1
	v_lshlrev_b64 v[34:35], 3, v[50:51]
	v_mov_b32_e32 v1, s38
	v_add_co_u32_e32 v34, vcc, s37, v34
	v_addc_co_u32_e32 v35, vcc, v1, v35, vcc
	s_waitcnt vmcnt(0)
	global_store_dwordx2 v[34:35], v[20:21], off
	s_or_b64 exec, exec, s[0:1]
	s_and_saveexec_b64 s[0:1], s[18:19]
	s_cbranch_execz .LBB53_122
.LBB53_138:                             ;   in Loop: Header=BB53_80 Depth=1
	v_lshlrev_b64 v[34:35], 3, v[52:53]
	v_mov_b32_e32 v1, s38
	v_add_co_u32_e32 v34, vcc, s37, v34
	v_addc_co_u32_e32 v35, vcc, v1, v35, vcc
	s_waitcnt vmcnt(0)
	global_store_dwordx2 v[34:35], v[22:23], off
	s_or_b64 exec, exec, s[0:1]
	s_and_saveexec_b64 s[0:1], s[20:21]
	s_cbranch_execz .LBB53_123
.LBB53_139:                             ;   in Loop: Header=BB53_80 Depth=1
	v_lshlrev_b64 v[34:35], 3, v[54:55]
	v_mov_b32_e32 v1, s38
	v_add_co_u32_e32 v34, vcc, s37, v34
	v_addc_co_u32_e32 v35, vcc, v1, v35, vcc
	s_waitcnt vmcnt(0)
	global_store_dwordx2 v[34:35], v[24:25], off
	s_or_b64 exec, exec, s[0:1]
	s_and_saveexec_b64 s[0:1], s[22:23]
	s_cbranch_execz .LBB53_124
.LBB53_140:                             ;   in Loop: Header=BB53_80 Depth=1
	v_lshlrev_b64 v[34:35], 3, v[56:57]
	v_mov_b32_e32 v1, s38
	v_add_co_u32_e32 v34, vcc, s37, v34
	v_addc_co_u32_e32 v35, vcc, v1, v35, vcc
	s_waitcnt vmcnt(0)
	global_store_dwordx2 v[34:35], v[26:27], off
	s_or_b64 exec, exec, s[0:1]
	s_and_saveexec_b64 s[0:1], s[24:25]
	s_cbranch_execz .LBB53_125
.LBB53_141:                             ;   in Loop: Header=BB53_80 Depth=1
	v_lshlrev_b64 v[34:35], 3, v[58:59]
	v_mov_b32_e32 v1, s38
	v_add_co_u32_e32 v34, vcc, s37, v34
	v_addc_co_u32_e32 v35, vcc, v1, v35, vcc
	s_waitcnt vmcnt(0)
	global_store_dwordx2 v[34:35], v[28:29], off
	s_or_b64 exec, exec, s[0:1]
	s_and_saveexec_b64 s[0:1], s[26:27]
	s_cbranch_execz .LBB53_126
.LBB53_142:                             ;   in Loop: Header=BB53_80 Depth=1
	v_lshlrev_b64 v[34:35], 3, v[60:61]
	v_mov_b32_e32 v1, s38
	v_add_co_u32_e32 v34, vcc, s37, v34
	v_addc_co_u32_e32 v35, vcc, v1, v35, vcc
	s_waitcnt vmcnt(0)
	global_store_dwordx2 v[34:35], v[30:31], off
	s_or_b64 exec, exec, s[0:1]
	s_and_saveexec_b64 s[0:1], s[28:29]
	s_cbranch_execz .LBB53_79
.LBB53_143:                             ;   in Loop: Header=BB53_80 Depth=1
	v_lshlrev_b64 v[34:35], 3, v[62:63]
	v_mov_b32_e32 v1, s38
	v_add_co_u32_e32 v34, vcc, s37, v34
	v_addc_co_u32_e32 v35, vcc, v1, v35, vcc
	s_waitcnt vmcnt(0)
	global_store_dwordx2 v[34:35], v[32:33], off
	s_branch .LBB53_79
.LBB53_144:
	s_endpgm
	.section	.rodata,"a",@progbits
	.p2align	6, 0x0
	.amdhsa_kernel _ZN9rocsolver6v33100L10stedc_sortIddPdS2_EEviPT0_lS4_lT1_iilT2_iil
		.amdhsa_group_segment_fixed_size 2048
		.amdhsa_private_segment_fixed_size 0
		.amdhsa_kernarg_size 344
		.amdhsa_user_sgpr_count 6
		.amdhsa_user_sgpr_private_segment_buffer 1
		.amdhsa_user_sgpr_dispatch_ptr 0
		.amdhsa_user_sgpr_queue_ptr 0
		.amdhsa_user_sgpr_kernarg_segment_ptr 1
		.amdhsa_user_sgpr_dispatch_id 0
		.amdhsa_user_sgpr_flat_scratch_init 0
		.amdhsa_user_sgpr_kernarg_preload_length 0
		.amdhsa_user_sgpr_kernarg_preload_offset 0
		.amdhsa_user_sgpr_private_segment_size 0
		.amdhsa_uses_dynamic_stack 0
		.amdhsa_system_sgpr_private_segment_wavefront_offset 0
		.amdhsa_system_sgpr_workgroup_id_x 1
		.amdhsa_system_sgpr_workgroup_id_y 1
		.amdhsa_system_sgpr_workgroup_id_z 0
		.amdhsa_system_sgpr_workgroup_info 0
		.amdhsa_system_vgpr_workitem_id 0
		.amdhsa_next_free_vgpr 68
		.amdhsa_next_free_sgpr 73
		.amdhsa_accum_offset 68
		.amdhsa_reserve_vcc 1
		.amdhsa_reserve_flat_scratch 0
		.amdhsa_float_round_mode_32 0
		.amdhsa_float_round_mode_16_64 0
		.amdhsa_float_denorm_mode_32 3
		.amdhsa_float_denorm_mode_16_64 3
		.amdhsa_dx10_clamp 1
		.amdhsa_ieee_mode 1
		.amdhsa_fp16_overflow 0
		.amdhsa_tg_split 0
		.amdhsa_exception_fp_ieee_invalid_op 0
		.amdhsa_exception_fp_denorm_src 0
		.amdhsa_exception_fp_ieee_div_zero 0
		.amdhsa_exception_fp_ieee_overflow 0
		.amdhsa_exception_fp_ieee_underflow 0
		.amdhsa_exception_fp_ieee_inexact 0
		.amdhsa_exception_int_div_zero 0
	.end_amdhsa_kernel
	.section	.text._ZN9rocsolver6v33100L10stedc_sortIddPdS2_EEviPT0_lS4_lT1_iilT2_iil,"axG",@progbits,_ZN9rocsolver6v33100L10stedc_sortIddPdS2_EEviPT0_lS4_lT1_iilT2_iil,comdat
.Lfunc_end53:
	.size	_ZN9rocsolver6v33100L10stedc_sortIddPdS2_EEviPT0_lS4_lT1_iilT2_iil, .Lfunc_end53-_ZN9rocsolver6v33100L10stedc_sortIddPdS2_EEviPT0_lS4_lT1_iilT2_iil
                                        ; -- End function
	.section	.AMDGPU.csdata,"",@progbits
; Kernel info:
; codeLenInByte = 5100
; NumSgprs: 77
; NumVgprs: 68
; NumAgprs: 0
; TotalNumVgprs: 68
; ScratchSize: 0
; MemoryBound: 0
; FloatMode: 240
; IeeeMode: 1
; LDSByteSize: 2048 bytes/workgroup (compile time only)
; SGPRBlocks: 9
; VGPRBlocks: 8
; NumSGPRsForWavesPerEU: 77
; NumVGPRsForWavesPerEU: 68
; AccumOffset: 68
; Occupancy: 7
; WaveLimiterHint : 0
; COMPUTE_PGM_RSRC2:SCRATCH_EN: 0
; COMPUTE_PGM_RSRC2:USER_SGPR: 6
; COMPUTE_PGM_RSRC2:TRAP_HANDLER: 0
; COMPUTE_PGM_RSRC2:TGID_X_EN: 1
; COMPUTE_PGM_RSRC2:TGID_Y_EN: 1
; COMPUTE_PGM_RSRC2:TGID_Z_EN: 0
; COMPUTE_PGM_RSRC2:TIDIG_COMP_CNT: 0
; COMPUTE_PGM_RSRC3_GFX90A:ACCUM_OFFSET: 16
; COMPUTE_PGM_RSRC3_GFX90A:TG_SPLIT: 0
	.section	.text._ZN9rocsolver6v33100L16reset_batch_infoI19rocblas_complex_numIfEiiPS3_EEvT2_lT0_T1_,"axG",@progbits,_ZN9rocsolver6v33100L16reset_batch_infoI19rocblas_complex_numIfEiiPS3_EEvT2_lT0_T1_,comdat
	.globl	_ZN9rocsolver6v33100L16reset_batch_infoI19rocblas_complex_numIfEiiPS3_EEvT2_lT0_T1_ ; -- Begin function _ZN9rocsolver6v33100L16reset_batch_infoI19rocblas_complex_numIfEiiPS3_EEvT2_lT0_T1_
	.p2align	8
	.type	_ZN9rocsolver6v33100L16reset_batch_infoI19rocblas_complex_numIfEiiPS3_EEvT2_lT0_T1_,@function
_ZN9rocsolver6v33100L16reset_batch_infoI19rocblas_complex_numIfEiiPS3_EEvT2_lT0_T1_: ; @_ZN9rocsolver6v33100L16reset_batch_infoI19rocblas_complex_numIfEiiPS3_EEvT2_lT0_T1_
; %bb.0:
	s_load_dword s2, s[4:5], 0x24
	s_load_dwordx2 s[0:1], s[4:5], 0x10
	s_waitcnt lgkmcnt(0)
	s_and_b32 s2, s2, 0xffff
	s_mul_i32 s6, s6, s2
	v_add_u32_e32 v0, s6, v0
	v_cmp_gt_i32_e32 vcc, s0, v0
	s_and_saveexec_b64 s[2:3], vcc
	s_cbranch_execz .LBB54_2
; %bb.1:
	s_load_dwordx4 s[8:11], s[4:5], 0x0
	s_ashr_i32 s0, s7, 31
	v_ashrrev_i32_e32 v1, 31, v0
	v_cvt_f32_i32_e32 v2, s1
	v_lshlrev_b64 v[0:1], 3, v[0:1]
	s_waitcnt lgkmcnt(0)
	s_mul_i32 s3, s7, s11
	s_mul_hi_u32 s4, s7, s10
	s_mul_i32 s0, s0, s10
	s_add_i32 s3, s4, s3
	s_mul_i32 s2, s7, s10
	s_add_i32 s3, s3, s0
	s_lshl_b64 s[2:3], s[2:3], 3
	s_add_u32 s0, s8, s2
	s_addc_u32 s2, s9, s3
	v_mov_b32_e32 v3, s2
	v_add_co_u32_e32 v0, vcc, s0, v0
	v_addc_co_u32_e32 v1, vcc, v3, v1, vcc
	v_mov_b32_e32 v3, 0
	global_store_dwordx2 v[0:1], v[2:3], off
.LBB54_2:
	s_endpgm
	.section	.rodata,"a",@progbits
	.p2align	6, 0x0
	.amdhsa_kernel _ZN9rocsolver6v33100L16reset_batch_infoI19rocblas_complex_numIfEiiPS3_EEvT2_lT0_T1_
		.amdhsa_group_segment_fixed_size 0
		.amdhsa_private_segment_fixed_size 0
		.amdhsa_kernarg_size 280
		.amdhsa_user_sgpr_count 6
		.amdhsa_user_sgpr_private_segment_buffer 1
		.amdhsa_user_sgpr_dispatch_ptr 0
		.amdhsa_user_sgpr_queue_ptr 0
		.amdhsa_user_sgpr_kernarg_segment_ptr 1
		.amdhsa_user_sgpr_dispatch_id 0
		.amdhsa_user_sgpr_flat_scratch_init 0
		.amdhsa_user_sgpr_kernarg_preload_length 0
		.amdhsa_user_sgpr_kernarg_preload_offset 0
		.amdhsa_user_sgpr_private_segment_size 0
		.amdhsa_uses_dynamic_stack 0
		.amdhsa_system_sgpr_private_segment_wavefront_offset 0
		.amdhsa_system_sgpr_workgroup_id_x 1
		.amdhsa_system_sgpr_workgroup_id_y 1
		.amdhsa_system_sgpr_workgroup_id_z 0
		.amdhsa_system_sgpr_workgroup_info 0
		.amdhsa_system_vgpr_workitem_id 0
		.amdhsa_next_free_vgpr 4
		.amdhsa_next_free_sgpr 12
		.amdhsa_accum_offset 4
		.amdhsa_reserve_vcc 1
		.amdhsa_reserve_flat_scratch 0
		.amdhsa_float_round_mode_32 0
		.amdhsa_float_round_mode_16_64 0
		.amdhsa_float_denorm_mode_32 3
		.amdhsa_float_denorm_mode_16_64 3
		.amdhsa_dx10_clamp 1
		.amdhsa_ieee_mode 1
		.amdhsa_fp16_overflow 0
		.amdhsa_tg_split 0
		.amdhsa_exception_fp_ieee_invalid_op 0
		.amdhsa_exception_fp_denorm_src 0
		.amdhsa_exception_fp_ieee_div_zero 0
		.amdhsa_exception_fp_ieee_overflow 0
		.amdhsa_exception_fp_ieee_underflow 0
		.amdhsa_exception_fp_ieee_inexact 0
		.amdhsa_exception_int_div_zero 0
	.end_amdhsa_kernel
	.section	.text._ZN9rocsolver6v33100L16reset_batch_infoI19rocblas_complex_numIfEiiPS3_EEvT2_lT0_T1_,"axG",@progbits,_ZN9rocsolver6v33100L16reset_batch_infoI19rocblas_complex_numIfEiiPS3_EEvT2_lT0_T1_,comdat
.Lfunc_end54:
	.size	_ZN9rocsolver6v33100L16reset_batch_infoI19rocblas_complex_numIfEiiPS3_EEvT2_lT0_T1_, .Lfunc_end54-_ZN9rocsolver6v33100L16reset_batch_infoI19rocblas_complex_numIfEiiPS3_EEvT2_lT0_T1_
                                        ; -- End function
	.section	.AMDGPU.csdata,"",@progbits
; Kernel info:
; codeLenInByte = 144
; NumSgprs: 16
; NumVgprs: 4
; NumAgprs: 0
; TotalNumVgprs: 4
; ScratchSize: 0
; MemoryBound: 0
; FloatMode: 240
; IeeeMode: 1
; LDSByteSize: 0 bytes/workgroup (compile time only)
; SGPRBlocks: 1
; VGPRBlocks: 0
; NumSGPRsForWavesPerEU: 16
; NumVGPRsForWavesPerEU: 4
; AccumOffset: 4
; Occupancy: 8
; WaveLimiterHint : 0
; COMPUTE_PGM_RSRC2:SCRATCH_EN: 0
; COMPUTE_PGM_RSRC2:USER_SGPR: 6
; COMPUTE_PGM_RSRC2:TRAP_HANDLER: 0
; COMPUTE_PGM_RSRC2:TGID_X_EN: 1
; COMPUTE_PGM_RSRC2:TGID_Y_EN: 1
; COMPUTE_PGM_RSRC2:TGID_Z_EN: 0
; COMPUTE_PGM_RSRC2:TIDIG_COMP_CNT: 0
; COMPUTE_PGM_RSRC3_GFX90A:ACCUM_OFFSET: 0
; COMPUTE_PGM_RSRC3_GFX90A:TG_SPLIT: 0
	.section	.text._ZN9rocsolver6v33100L10init_identI19rocblas_complex_numIfEPS3_EEviiT0_iil,"axG",@progbits,_ZN9rocsolver6v33100L10init_identI19rocblas_complex_numIfEPS3_EEviiT0_iil,comdat
	.globl	_ZN9rocsolver6v33100L10init_identI19rocblas_complex_numIfEPS3_EEviiT0_iil ; -- Begin function _ZN9rocsolver6v33100L10init_identI19rocblas_complex_numIfEPS3_EEviiT0_iil
	.p2align	8
	.type	_ZN9rocsolver6v33100L10init_identI19rocblas_complex_numIfEPS3_EEviiT0_iil,@function
_ZN9rocsolver6v33100L10init_identI19rocblas_complex_numIfEPS3_EEviiT0_iil: ; @_ZN9rocsolver6v33100L10init_identI19rocblas_complex_numIfEPS3_EEviiT0_iil
; %bb.0:
	s_load_dword s2, s[4:5], 0x2c
	s_load_dwordx2 s[0:1], s[4:5], 0x0
	v_and_b32_e32 v1, 0x3ff, v0
	v_bfe_u32 v0, v0, 10, 10
	s_waitcnt lgkmcnt(0)
	s_lshr_b32 s3, s2, 16
	s_and_b32 s2, s2, 0xffff
	s_mul_i32 s6, s6, s2
	s_mul_i32 s7, s7, s3
	v_add_u32_e32 v4, s6, v1
	v_add_u32_e32 v1, s7, v0
	v_cmp_gt_u32_e32 vcc, s0, v4
	v_cmp_gt_u32_e64 s[0:1], s1, v1
	s_and_b64 s[0:1], vcc, s[0:1]
	s_and_saveexec_b64 s[2:3], s[0:1]
	s_cbranch_execz .LBB55_6
; %bb.1:
	s_load_dwordx2 s[0:1], s[4:5], 0x10
	v_cmp_ne_u32_e32 vcc, v4, v1
                                        ; implicit-def: $sgpr6
                                        ; implicit-def: $vgpr0
	s_and_saveexec_b64 s[2:3], vcc
	s_xor_b64 s[2:3], exec, s[2:3]
	s_cbranch_execz .LBB55_3
; %bb.2:
	s_waitcnt lgkmcnt(0)
	v_mad_u64_u32 v[0:1], s[6:7], v1, s1, v[4:5]
	s_mov_b32 s6, 0
                                        ; implicit-def: $vgpr4
.LBB55_3:
	s_or_saveexec_b64 s[2:3], s[2:3]
	v_mov_b32_e32 v2, s6
	s_xor_b64 exec, exec, s[2:3]
	s_cbranch_execz .LBB55_5
; %bb.4:
	s_waitcnt lgkmcnt(0)
	v_mad_u64_u32 v[0:1], s[6:7], v4, s1, v[4:5]
	v_mov_b32_e32 v2, 1.0
.LBB55_5:
	s_or_b64 exec, exec, s[2:3]
	s_load_dwordx2 s[2:3], s[4:5], 0x18
	s_load_dwordx2 s[6:7], s[4:5], 0x8
	s_waitcnt lgkmcnt(0)
	s_ashr_i32 s1, s0, 31
	v_mov_b32_e32 v1, 0
	v_lshlrev_b64 v[4:5], 3, v[0:1]
	s_mul_i32 s3, s8, s3
	s_mul_hi_u32 s4, s8, s2
	s_mul_i32 s2, s8, s2
	s_add_i32 s3, s4, s3
	s_lshl_b64 s[2:3], s[2:3], 3
	s_add_u32 s2, s6, s2
	s_addc_u32 s3, s7, s3
	s_lshl_b64 s[0:1], s[0:1], 3
	s_add_u32 s0, s2, s0
	s_addc_u32 s1, s3, s1
	v_mov_b32_e32 v0, s1
	v_add_co_u32_e32 v4, vcc, s0, v4
	v_addc_co_u32_e32 v5, vcc, v0, v5, vcc
	v_mov_b32_e32 v3, v1
	global_store_dwordx2 v[4:5], v[2:3], off
.LBB55_6:
	s_endpgm
	.section	.rodata,"a",@progbits
	.p2align	6, 0x0
	.amdhsa_kernel _ZN9rocsolver6v33100L10init_identI19rocblas_complex_numIfEPS3_EEviiT0_iil
		.amdhsa_group_segment_fixed_size 0
		.amdhsa_private_segment_fixed_size 0
		.amdhsa_kernarg_size 288
		.amdhsa_user_sgpr_count 6
		.amdhsa_user_sgpr_private_segment_buffer 1
		.amdhsa_user_sgpr_dispatch_ptr 0
		.amdhsa_user_sgpr_queue_ptr 0
		.amdhsa_user_sgpr_kernarg_segment_ptr 1
		.amdhsa_user_sgpr_dispatch_id 0
		.amdhsa_user_sgpr_flat_scratch_init 0
		.amdhsa_user_sgpr_kernarg_preload_length 0
		.amdhsa_user_sgpr_kernarg_preload_offset 0
		.amdhsa_user_sgpr_private_segment_size 0
		.amdhsa_uses_dynamic_stack 0
		.amdhsa_system_sgpr_private_segment_wavefront_offset 0
		.amdhsa_system_sgpr_workgroup_id_x 1
		.amdhsa_system_sgpr_workgroup_id_y 1
		.amdhsa_system_sgpr_workgroup_id_z 1
		.amdhsa_system_sgpr_workgroup_info 0
		.amdhsa_system_vgpr_workitem_id 1
		.amdhsa_next_free_vgpr 6
		.amdhsa_next_free_sgpr 9
		.amdhsa_accum_offset 8
		.amdhsa_reserve_vcc 1
		.amdhsa_reserve_flat_scratch 0
		.amdhsa_float_round_mode_32 0
		.amdhsa_float_round_mode_16_64 0
		.amdhsa_float_denorm_mode_32 3
		.amdhsa_float_denorm_mode_16_64 3
		.amdhsa_dx10_clamp 1
		.amdhsa_ieee_mode 1
		.amdhsa_fp16_overflow 0
		.amdhsa_tg_split 0
		.amdhsa_exception_fp_ieee_invalid_op 0
		.amdhsa_exception_fp_denorm_src 0
		.amdhsa_exception_fp_ieee_div_zero 0
		.amdhsa_exception_fp_ieee_overflow 0
		.amdhsa_exception_fp_ieee_underflow 0
		.amdhsa_exception_fp_ieee_inexact 0
		.amdhsa_exception_int_div_zero 0
	.end_amdhsa_kernel
	.section	.text._ZN9rocsolver6v33100L10init_identI19rocblas_complex_numIfEPS3_EEviiT0_iil,"axG",@progbits,_ZN9rocsolver6v33100L10init_identI19rocblas_complex_numIfEPS3_EEviiT0_iil,comdat
.Lfunc_end55:
	.size	_ZN9rocsolver6v33100L10init_identI19rocblas_complex_numIfEPS3_EEviiT0_iil, .Lfunc_end55-_ZN9rocsolver6v33100L10init_identI19rocblas_complex_numIfEPS3_EEviiT0_iil
                                        ; -- End function
	.section	.AMDGPU.csdata,"",@progbits
; Kernel info:
; codeLenInByte = 268
; NumSgprs: 13
; NumVgprs: 6
; NumAgprs: 0
; TotalNumVgprs: 6
; ScratchSize: 0
; MemoryBound: 0
; FloatMode: 240
; IeeeMode: 1
; LDSByteSize: 0 bytes/workgroup (compile time only)
; SGPRBlocks: 1
; VGPRBlocks: 0
; NumSGPRsForWavesPerEU: 13
; NumVGPRsForWavesPerEU: 6
; AccumOffset: 8
; Occupancy: 8
; WaveLimiterHint : 0
; COMPUTE_PGM_RSRC2:SCRATCH_EN: 0
; COMPUTE_PGM_RSRC2:USER_SGPR: 6
; COMPUTE_PGM_RSRC2:TRAP_HANDLER: 0
; COMPUTE_PGM_RSRC2:TGID_X_EN: 1
; COMPUTE_PGM_RSRC2:TGID_Y_EN: 1
; COMPUTE_PGM_RSRC2:TGID_Z_EN: 1
; COMPUTE_PGM_RSRC2:TIDIG_COMP_CNT: 1
; COMPUTE_PGM_RSRC3_GFX90A:ACCUM_OFFSET: 1
; COMPUTE_PGM_RSRC3_GFX90A:TG_SPLIT: 0
	.section	.text._ZN9rocsolver6v33100L11lasr_kernelI19rocblas_complex_numIfEfPS3_iEEv13rocblas_side_14rocblas_pivot_15rocblas_direct_T2_S8_PT0_lSA_lT1_lS8_lS8_,"axG",@progbits,_ZN9rocsolver6v33100L11lasr_kernelI19rocblas_complex_numIfEfPS3_iEEv13rocblas_side_14rocblas_pivot_15rocblas_direct_T2_S8_PT0_lSA_lT1_lS8_lS8_,comdat
	.globl	_ZN9rocsolver6v33100L11lasr_kernelI19rocblas_complex_numIfEfPS3_iEEv13rocblas_side_14rocblas_pivot_15rocblas_direct_T2_S8_PT0_lSA_lT1_lS8_lS8_ ; -- Begin function _ZN9rocsolver6v33100L11lasr_kernelI19rocblas_complex_numIfEfPS3_iEEv13rocblas_side_14rocblas_pivot_15rocblas_direct_T2_S8_PT0_lSA_lT1_lS8_lS8_
	.p2align	8
	.type	_ZN9rocsolver6v33100L11lasr_kernelI19rocblas_complex_numIfEfPS3_iEEv13rocblas_side_14rocblas_pivot_15rocblas_direct_T2_S8_PT0_lSA_lT1_lS8_lS8_,@function
_ZN9rocsolver6v33100L11lasr_kernelI19rocblas_complex_numIfEfPS3_iEEv13rocblas_side_14rocblas_pivot_15rocblas_direct_T2_S8_PT0_lSA_lT1_lS8_lS8_: ; @_ZN9rocsolver6v33100L11lasr_kernelI19rocblas_complex_numIfEfPS3_iEEv13rocblas_side_14rocblas_pivot_15rocblas_direct_T2_S8_PT0_lSA_lT1_lS8_lS8_
; %bb.0:
	s_load_dword s33, s[4:5], 0x58
	s_waitcnt lgkmcnt(0)
	s_cmp_ge_u32 s7, s33
	s_cbranch_scc1 .LBB56_98
; %bb.1:
	s_load_dwordx4 s[0:3], s[4:5], 0x38
	s_load_dword s20, s[4:5], 0x48
	s_load_dwordx2 s[22:23], s[4:5], 0x50
	s_load_dword s26, s[4:5], 0x60
	s_load_dwordx2 s[24:25], s[4:5], 0x68
	s_load_dwordx4 s[16:19], s[4:5], 0x0
	s_load_dword s86, s[4:5], 0x10
	s_load_dwordx8 s[8:15], s[4:5], 0x18
	s_waitcnt lgkmcnt(0)
	s_ashr_i32 s21, s20, 31
	s_and_b32 s5, s25, 0xffff
	s_mul_i32 s6, s6, s5
	s_lshl_b64 s[2:3], s[2:3], 3
	v_add_u32_e32 v0, s6, v0
	s_add_u32 s6, s0, s2
	s_addc_u32 s25, s1, s3
	s_cmpk_lg_i32 s16, 0x8d
	s_cselect_b64 s[38:39], -1, 0
	s_cmpk_lg_i32 s16, 0x8e
	s_cselect_b64 s[44:45], -1, 0
	;; [unrolled: 2-line block ×6, first 2 shown]
	s_or_b64 s[28:29], s[38:39], s[42:43]
	s_or_b64 s[16:17], s[28:29], s[52:53]
	s_xor_b64 s[16:17], s[16:17], -1
	s_ashr_i32 s27, s19, 31
	s_add_i32 s62, s19, -2
	s_cmpk_lg_i32 s18, 0xac
	s_cselect_b64 s[54:55], -1, 0
	s_or_b64 s[28:29], s[28:29], s[54:55]
	s_xor_b64 s[28:29], s[28:29], -1
	s_cmp_gt_i32 s19, 1
	s_cselect_b64 s[30:31], -1, 0
	s_or_b64 s[36:37], s[38:39], s[50:51]
	s_or_b64 s[40:41], s[38:39], s[48:49]
	;; [unrolled: 1-line block ×9, first 2 shown]
	s_xor_b64 s[34:35], s[34:35], -1
	s_xor_b64 s[36:37], s[36:37], -1
	;; [unrolled: 1-line block ×5, first 2 shown]
	s_add_i32 s18, s86, -1
	s_xor_b64 s[46:47], s[46:47], -1
                                        ; implicit-def: $vgpr48 : SGPR spill to VGPR lane
	s_add_i32 s68, s86, -2
	v_writelane_b32 v48, s46, 0
	s_cmp_gt_i32 s86, 1
	v_writelane_b32 v48, s47, 1
	s_cselect_b64 s[46:47], -1, 0
	s_or_b64 s[50:51], s[44:45], s[50:51]
	s_or_b64 s[56:57], s[50:51], s[52:53]
	s_xor_b64 s[56:57], s[56:57], -1
	v_writelane_b32 v48, s56, 2
	s_or_b64 s[50:51], s[50:51], s[54:55]
	v_writelane_b32 v48, s57, 3
	s_xor_b64 s[50:51], s[50:51], -1
	s_or_b64 s[44:45], s[44:45], s[48:49]
	v_writelane_b32 v48, s50, 4
	s_or_b64 s[48:49], s[44:45], s[52:53]
	v_writelane_b32 v48, s51, 5
	s_xor_b64 s[48:49], s[48:49], -1
	v_writelane_b32 v48, s48, 6
	v_cmp_le_i32_e32 vcc, s19, v0
	v_writelane_b32 v48, s49, 7
	s_or_b64 s[48:49], s[54:55], vcc
	s_or_b64 s[44:45], s[44:45], s[48:49]
	s_xor_b64 s[44:45], s[44:45], -1
	s_mul_i32 s4, s26, s5
	v_writelane_b32 v48, s44, 8
	v_writelane_b32 v48, s45, 9
	s_mul_hi_i32 s45, s20, s4
	s_mul_i32 s44, s20, s4
	s_mov_b32 s63, 0
	s_add_i32 s56, s19, -1
	s_lshl_b64 s[14:15], s[14:15], 2
	s_lshl_b64 s[58:59], s[22:23], 3
	s_ashr_i32 s5, s4, 31
	s_lshl_b64 s[60:61], s[44:45], 3
	s_lshl_b64 s[10:11], s[10:11], 2
	;; [unrolled: 1-line block ×3, first 2 shown]
	s_add_u32 s87, s8, s44
	s_addc_u32 s88, s9, s45
	s_add_u32 s89, s12, s44
	s_mul_i32 s26, s21, s68
	s_mul_hi_u32 s48, s20, s68
	s_addc_u32 s90, s13, s45
	s_mov_b32 s57, s63
	s_add_i32 s49, s48, s26
	s_mul_i32 s48, s20, s68
	s_mov_b32 s69, s63
	s_lshl_b64 s[44:45], s[62:63], 3
	s_lshl_b64 s[48:49], s[48:49], 3
	s_add_i32 s91, s19, 1
	s_lshl_b64 s[50:51], s[56:57], 3
	s_lshl_b64 s[62:63], s[20:21], 3
	;; [unrolled: 1-line block ×3, first 2 shown]
	s_add_u32 s5, s48, s2
	s_addc_u32 s26, s49, s3
	s_add_u32 s52, s0, s5
	s_mul_i32 s5, s21, s18
	s_mul_hi_u32 s21, s20, s18
	s_mul_i32 s66, s20, s18
	s_addc_u32 s26, s1, s26
	s_add_i32 s49, s21, s5
	s_mov_b32 s48, s66
	s_lshl_b64 s[48:49], s[48:49], 3
	s_add_u32 s5, s48, s2
	s_addc_u32 s21, s49, s3
	s_add_u32 s53, s0, s5
	s_addc_u32 s54, s1, s21
	s_lshl_b64 s[48:49], s[68:69], 2
	s_add_u32 s5, s8, s48
	s_addc_u32 s21, s9, s49
	s_add_u32 s57, s12, s48
	s_addc_u32 s92, s13, s49
	;; [unrolled: 2-line block ×4, first 2 shown]
	v_mad_i64_i32 v[2:3], s[0:1], s20, v0, 0
	v_lshlrev_b64 v[2:3], 3, v[2:3]
	v_mov_b32_e32 v1, s25
	v_add_co_u32_e32 v4, vcc, s6, v2
	v_addc_co_u32_e32 v1, vcc, v1, v3, vcc
	v_add_co_u32_e32 v2, vcc, 8, v4
	v_addc_co_u32_e32 v3, vcc, 0, v1, vcc
	v_mov_b32_e32 v5, s45
	v_add_co_u32_e32 v16, vcc, s44, v4
	v_addc_co_u32_e32 v17, vcc, v1, v5, vcc
	v_add_co_u32_e32 v18, vcc, 4, v4
	v_addc_co_u32_e32 v19, vcc, 0, v1, vcc
	v_mov_b32_e32 v1, s51
	v_add_co_u32_e32 v20, vcc, s50, v18
	v_addc_co_u32_e32 v21, vcc, v19, v1, vcc
	v_add_co_u32_e32 v22, vcc, 4, v16
	v_ashrrev_i32_e32 v1, 31, v0
	v_addc_co_u32_e32 v23, vcc, 0, v17, vcc
	v_lshlrev_b64 v[4:5], 3, v[0:1]
	v_mov_b32_e32 v1, s25
	v_add_co_u32_e32 v24, vcc, s6, v4
	v_addc_co_u32_e32 v25, vcc, v1, v5, vcc
	v_mov_b32_e32 v1, s26
	v_add_co_u32_e32 v26, vcc, s52, v4
	v_addc_co_u32_e32 v27, vcc, v1, v5, vcc
	;; [unrolled: 3-line block ×3, first 2 shown]
	v_add_co_u32_e32 v28, vcc, 4, v6
	v_addc_co_u32_e32 v29, vcc, 0, v1, vcc
	v_mov_b32_e32 v1, s3
	v_add_co_u32_e32 v4, vcc, s2, v4
	v_addc_co_u32_e32 v1, vcc, v1, v5, vcc
	v_add_co_u32_e32 v30, vcc, 4, v4
	v_addc_co_u32_e32 v31, vcc, 0, v1, vcc
	v_add_co_u32_e32 v32, vcc, 4, v24
	v_addc_co_u32_e32 v33, vcc, 0, v25, vcc
	s_add_i32 s93, s86, 1
	v_add_co_u32_e32 v34, vcc, 4, v26
	s_sub_u32 s94, 0, s62
	v_addc_co_u32_e32 v35, vcc, 0, v27, vcc
	s_mov_b32 s26, s19
	s_mul_hi_i32 s67, s20, s18
	v_mov_b32_e32 v36, 0
	s_subb_u32 s95, 0, s63
	v_cmp_gt_i32_e64 s[0:1], s86, v0
	v_cmp_gt_i32_e64 s[2:3], s19, v0
	s_branch .LBB56_4
.LBB56_2:                               ;   in Loop: Header=BB56_4 Depth=1
	s_or_b64 exec, exec, s[68:69]
.LBB56_3:                               ;   in Loop: Header=BB56_4 Depth=1
	s_add_i32 s7, s7, s24
	s_cmp_ge_u32 s7, s33
	s_cbranch_scc1 .LBB56_98
.LBB56_4:                               ; =>This Loop Header: Depth=1
                                        ;     Child Loop BB56_8 Depth 2
                                        ;       Child Loop BB56_9 Depth 3
                                        ;     Child Loop BB56_16 Depth 2
                                        ;       Child Loop BB56_17 Depth 3
	;; [unrolled: 2-line block ×12, first 2 shown]
	s_mul_i32 s44, s11, s7
	s_mul_hi_u32 s45, s10, s7
	s_add_i32 s84, s45, s44
	s_mul_i32 s44, s15, s7
	s_mul_hi_u32 s45, s14, s7
	s_mul_i32 s85, s10, s7
	s_add_i32 s50, s45, s44
	s_add_u32 s68, s8, s85
	v_mov_b32_e32 v1, s7
	s_mul_i32 s51, s14, s7
	s_addc_u32 s69, s9, s84
	v_mad_u64_u32 v[4:5], s[44:45], s58, v1, v[2:3]
	s_add_u32 s70, s12, s51
	s_mul_i32 s44, s7, s23
	s_mul_hi_u32 s45, s7, s22
	s_addc_u32 s71, s13, s50
	s_add_i32 s45, s45, s44
	s_mul_i32 s44, s7, s22
	s_lshl_b64 s[44:45], s[44:45], 3
	s_mul_i32 s52, s59, s7
	s_add_u32 s54, s6, s44
	v_add_u32_e32 v5, s52, v5
	s_addc_u32 s55, s25, s45
	s_andn2_b64 vcc, exec, s[16:17]
	s_mov_b64 s[72:73], -1
	s_cbranch_vccnz .LBB56_11
; %bb.5:                                ;   in Loop: Header=BB56_4 Depth=1
	s_and_saveexec_b64 s[72:73], s[0:1]
	s_cbranch_execz .LBB56_10
; %bb.6:                                ;   in Loop: Header=BB56_4 Depth=1
	s_lshl_b64 s[44:45], s[26:27], 3
	s_add_u32 s44, s54, s44
	s_addc_u32 s45, s55, s45
	s_add_u32 s53, s44, -8
	s_addc_u32 s48, s45, -1
	s_mov_b64 s[74:75], 0
	v_mov_b32_e32 v1, s55
	v_pk_mov_b32 v[6:7], v[4:5], v[4:5] op_sel:[0,1]
	v_mov_b32_e32 v14, v0
	s_branch .LBB56_8
.LBB56_7:                               ;   in Loop: Header=BB56_8 Depth=2
	v_mov_b32_e32 v12, s48
	v_add_co_u32_e32 v8, vcc, s53, v8
	v_addc_co_u32_e32 v9, vcc, v12, v9, vcc
	v_add_u32_e32 v14, s4, v14
	v_cmp_le_i32_e32 vcc, s86, v14
	s_waitcnt vmcnt(0)
	global_store_dwordx2 v[8:9], v[10:11], off
	v_mov_b32_e32 v8, s61
	s_or_b64 s[74:75], vcc, s[74:75]
	v_add_co_u32_e32 v6, vcc, s60, v6
	v_addc_co_u32_e32 v7, vcc, v7, v8, vcc
	s_andn2_b64 exec, exec, s[74:75]
	s_cbranch_execz .LBB56_10
.LBB56_8:                               ;   Parent Loop BB56_4 Depth=1
                                        ; =>  This Loop Header: Depth=2
                                        ;       Child Loop BB56_9 Depth 3
	v_mad_i64_i32 v[8:9], s[44:45], v14, s20, 0
	v_lshlrev_b64 v[8:9], 3, v[8:9]
	v_add_co_u32_e32 v10, vcc, s54, v8
	v_addc_co_u32_e32 v11, vcc, v1, v9, vcc
	global_load_dwordx2 v[10:11], v[10:11], off
	s_andn2_b64 vcc, exec, s[30:31]
	s_mov_b64 s[76:77], s[68:69]
	v_pk_mov_b32 v[12:13], v[6:7], v[6:7] op_sel:[0,1]
	s_mov_b64 s[78:79], s[70:71]
	s_mov_b32 s44, s56
	s_cbranch_vccnz .LBB56_7
.LBB56_9:                               ;   Parent Loop BB56_4 Depth=1
                                        ;     Parent Loop BB56_8 Depth=2
                                        ; =>    This Inner Loop Header: Depth=3
	global_load_dword v38, v36, s[78:79]
	global_load_dwordx2 v[40:41], v[12:13], off
	global_load_dword v42, v36, s[76:77]
	s_add_i32 s44, s44, -1
	s_add_u32 s78, s78, 4
	s_addc_u32 s79, s79, 0
	s_add_u32 s76, s76, 4
	s_addc_u32 s77, s77, 0
	s_cmp_eq_u32 s44, 0
	s_waitcnt vmcnt(1)
	v_mul_f32_e32 v44, v38, v40
	v_mul_f32_e32 v45, v38, v41
	s_waitcnt vmcnt(0)
	v_fmac_f32_e32 v44, v10, v42
	v_fmac_f32_e32 v45, v11, v42
	v_pk_mul_f32 v[38:39], v[10:11], v[38:39] op_sel_hi:[1,0]
	global_store_dwordx2 v[12:13], v[44:45], off offset:-8
	v_add_co_u32_e32 v12, vcc, 8, v12
	v_pk_fma_f32 v[10:11], v[42:43], v[40:41], v[38:39] op_sel_hi:[0,1,1] neg_lo:[0,0,1] neg_hi:[0,0,1]
	v_addc_co_u32_e32 v13, vcc, 0, v13, vcc
	s_cbranch_scc0 .LBB56_9
	s_branch .LBB56_7
.LBB56_10:                              ;   in Loop: Header=BB56_4 Depth=1
	s_or_b64 exec, exec, s[72:73]
	s_mov_b64 s[72:73], 0
.LBB56_11:                              ;   in Loop: Header=BB56_4 Depth=1
	s_andn2_b64 vcc, exec, s[72:73]
	s_cbranch_vccnz .LBB56_3
; %bb.12:                               ;   in Loop: Header=BB56_4 Depth=1
	s_mul_hi_u32 s44, s58, s7
	s_add_i32 s52, s44, s52
	s_add_u32 s72, s87, s85
	s_addc_u32 s73, s88, s84
	s_add_u32 s74, s89, s51
	s_mul_i32 s53, s58, s7
	s_addc_u32 s75, s90, s50
	s_andn2_b64 vcc, exec, s[28:29]
	s_mov_b64 s[76:77], -1
	s_cbranch_vccnz .LBB56_19
; %bb.13:                               ;   in Loop: Header=BB56_4 Depth=1
	s_and_saveexec_b64 s[76:77], s[0:1]
	s_cbranch_execz .LBB56_18
; %bb.14:                               ;   in Loop: Header=BB56_4 Depth=1
	s_lshl_b64 s[44:45], s[26:27], 3
	s_add_u32 s44, s54, s44
	s_addc_u32 s45, s55, s45
	v_mov_b32_e32 v1, s52
	v_add_co_u32_e32 v6, vcc, s53, v16
	s_add_u32 s48, s44, -8
	v_addc_co_u32_e32 v7, vcc, v17, v1, vcc
	s_addc_u32 s49, s45, -1
	s_mov_b64 s[78:79], 0
	v_mov_b32_e32 v1, v0
	s_branch .LBB56_16
.LBB56_15:                              ;   in Loop: Header=BB56_16 Depth=2
	v_mov_b32_e32 v12, s55
	v_add_co_u32_e32 v8, vcc, s54, v8
	v_addc_co_u32_e32 v9, vcc, v12, v9, vcc
	v_add_u32_e32 v1, s4, v1
	v_cmp_le_i32_e32 vcc, s86, v1
	s_waitcnt vmcnt(0)
	global_store_dwordx2 v[8:9], v[10:11], off
	v_mov_b32_e32 v8, s61
	s_or_b64 s[78:79], vcc, s[78:79]
	v_add_co_u32_e32 v6, vcc, s60, v6
	v_addc_co_u32_e32 v7, vcc, v7, v8, vcc
	s_andn2_b64 exec, exec, s[78:79]
	s_cbranch_execz .LBB56_18
.LBB56_16:                              ;   Parent Loop BB56_4 Depth=1
                                        ; =>  This Loop Header: Depth=2
                                        ;       Child Loop BB56_17 Depth 3
	v_mad_i64_i32 v[8:9], s[44:45], v1, s20, 0
	v_lshlrev_b64 v[8:9], 3, v[8:9]
	v_mov_b32_e32 v11, s49
	v_add_co_u32_e32 v10, vcc, s48, v8
	v_addc_co_u32_e32 v11, vcc, v11, v9, vcc
	global_load_dwordx2 v[10:11], v[10:11], off
	s_andn2_b64 vcc, exec, s[30:31]
	v_pk_mov_b32 v[12:13], v[6:7], v[6:7] op_sel:[0,1]
	s_mov_b64 s[80:81], s[74:75]
	s_mov_b64 s[82:83], s[72:73]
	s_mov_b32 s44, s56
	s_cbranch_vccnz .LBB56_15
.LBB56_17:                              ;   Parent Loop BB56_4 Depth=1
                                        ;     Parent Loop BB56_16 Depth=2
                                        ; =>    This Inner Loop Header: Depth=3
	global_load_dwordx2 v[14:15], v[12:13], off
	global_load_dword v38, v36, s[80:81]
	global_load_dword v40, v36, s[82:83]
	s_add_i32 s44, s44, -1
	s_add_u32 s82, s82, -4
	s_addc_u32 s83, s83, -1
	s_add_u32 s80, s80, -4
	s_addc_u32 s81, s81, -1
	s_cmp_eq_u32 s44, 0
	s_waitcnt vmcnt(1)
	v_mul_f32_e32 v37, v38, v14
	v_mul_f32_e32 v39, v38, v15
	s_waitcnt vmcnt(0)
	v_fma_f32 v42, v10, v40, -v37
	v_fma_f32 v43, v11, v40, -v39
	v_pk_mul_f32 v[14:15], v[40:41], v[14:15] op_sel_hi:[0,1]
	global_store_dwordx2 v[12:13], v[42:43], off offset:8
	v_add_co_u32_e32 v12, vcc, -8, v12
	v_pk_fma_f32 v[10:11], v[10:11], v[38:39], v[14:15] op_sel_hi:[1,0,1]
	v_addc_co_u32_e32 v13, vcc, -1, v13, vcc
	s_cbranch_scc0 .LBB56_17
	s_branch .LBB56_15
.LBB56_18:                              ;   in Loop: Header=BB56_4 Depth=1
	s_or_b64 exec, exec, s[76:77]
	s_mov_b64 s[76:77], 0
.LBB56_19:                              ;   in Loop: Header=BB56_4 Depth=1
	s_andn2_b64 vcc, exec, s[76:77]
	s_cbranch_vccnz .LBB56_3
; %bb.20:                               ;   in Loop: Header=BB56_4 Depth=1
	s_andn2_b64 vcc, exec, s[34:35]
	s_mov_b64 s[76:77], -1
	s_cbranch_vccnz .LBB56_27
; %bb.21:                               ;   in Loop: Header=BB56_4 Depth=1
	s_and_saveexec_b64 s[76:77], s[0:1]
	s_cbranch_execz .LBB56_26
; %bb.22:                               ;   in Loop: Header=BB56_4 Depth=1
	s_mov_b64 s[78:79], 0
	v_mov_b32_e32 v1, v0
	s_branch .LBB56_24
.LBB56_23:                              ;   in Loop: Header=BB56_24 Depth=2
	v_add_u32_e32 v1, s4, v1
	v_cmp_le_i32_e32 vcc, s86, v1
	s_waitcnt vmcnt(0)
	global_store_dwordx2 v[6:7], v[8:9], off
	v_mov_b32_e32 v6, s61
	s_or_b64 s[78:79], vcc, s[78:79]
	v_add_co_u32_e32 v4, vcc, s60, v4
	v_addc_co_u32_e32 v5, vcc, v5, v6, vcc
	s_andn2_b64 exec, exec, s[78:79]
	s_cbranch_execz .LBB56_26
.LBB56_24:                              ;   Parent Loop BB56_4 Depth=1
                                        ; =>  This Loop Header: Depth=2
                                        ;       Child Loop BB56_25 Depth 3
	v_mad_i64_i32 v[6:7], s[44:45], v1, s20, 0
	v_lshlrev_b64 v[6:7], 3, v[6:7]
	v_mov_b32_e32 v8, s55
	v_add_co_u32_e32 v6, vcc, s54, v6
	v_addc_co_u32_e32 v7, vcc, v8, v7, vcc
	global_load_dwordx2 v[8:9], v[6:7], off
	s_andn2_b64 vcc, exec, s[30:31]
	v_pk_mov_b32 v[10:11], v[4:5], v[4:5] op_sel:[0,1]
	s_mov_b32 s44, s56
	s_mov_b64 s[80:81], s[68:69]
	s_mov_b64 s[82:83], s[70:71]
	s_cbranch_vccnz .LBB56_23
.LBB56_25:                              ;   Parent Loop BB56_4 Depth=1
                                        ;     Parent Loop BB56_24 Depth=2
                                        ; =>    This Inner Loop Header: Depth=3
	global_load_dword v12, v36, s[82:83]
	global_load_dwordx2 v[14:15], v[10:11], off
	global_load_dword v38, v36, s[80:81]
	s_add_u32 s82, s82, 4
	s_addc_u32 s83, s83, 0
	s_add_u32 s80, s80, 4
	s_addc_u32 s81, s81, 0
	s_add_i32 s44, s44, -1
	s_cmp_eq_u32 s44, 0
	s_waitcnt vmcnt(2)
	v_mul_f32_e32 v37, v8, v12
	v_mul_f32_e32 v39, v9, v12
	s_waitcnt vmcnt(1)
	v_pk_mul_f32 v[12:13], v[12:13], v[14:15] op_sel_hi:[0,1]
	s_waitcnt vmcnt(0)
	v_fma_f32 v14, v38, v14, -v37
	v_fma_f32 v15, v38, v15, -v39
	global_store_dwordx2 v[10:11], v[14:15], off
	v_add_co_u32_e32 v10, vcc, 8, v10
	v_pk_fma_f32 v[8:9], v[8:9], v[38:39], v[12:13] op_sel_hi:[1,0,1]
	v_addc_co_u32_e32 v11, vcc, 0, v11, vcc
	s_cbranch_scc0 .LBB56_25
	s_branch .LBB56_23
.LBB56_26:                              ;   in Loop: Header=BB56_4 Depth=1
	s_or_b64 exec, exec, s[76:77]
	s_mov_b64 s[76:77], 0
.LBB56_27:                              ;   in Loop: Header=BB56_4 Depth=1
	s_andn2_b64 vcc, exec, s[76:77]
	s_cbranch_vccnz .LBB56_3
; %bb.28:                               ;   in Loop: Header=BB56_4 Depth=1
	s_andn2_b64 vcc, exec, s[36:37]
	s_mov_b64 s[76:77], -1
	s_cbranch_vccnz .LBB56_35
; %bb.29:                               ;   in Loop: Header=BB56_4 Depth=1
	s_and_saveexec_b64 s[76:77], s[0:1]
	s_cbranch_execz .LBB56_34
; %bb.30:                               ;   in Loop: Header=BB56_4 Depth=1
	v_mov_b32_e32 v1, s52
	v_add_co_u32_e32 v4, vcc, s53, v20
	v_addc_co_u32_e32 v5, vcc, v21, v1, vcc
	s_mov_b64 s[78:79], 0
	v_mov_b32_e32 v1, v0
	s_branch .LBB56_32
.LBB56_31:                              ;   in Loop: Header=BB56_32 Depth=2
	v_add_u32_e32 v1, s4, v1
	v_cmp_le_i32_e32 vcc, s86, v1
	s_waitcnt vmcnt(0)
	global_store_dwordx2 v[6:7], v[8:9], off
	v_mov_b32_e32 v6, s61
	s_or_b64 s[78:79], vcc, s[78:79]
	v_add_co_u32_e32 v4, vcc, s60, v4
	v_addc_co_u32_e32 v5, vcc, v5, v6, vcc
	s_andn2_b64 exec, exec, s[78:79]
	s_cbranch_execz .LBB56_34
.LBB56_32:                              ;   Parent Loop BB56_4 Depth=1
                                        ; =>  This Loop Header: Depth=2
                                        ;       Child Loop BB56_33 Depth 3
	v_mad_i64_i32 v[6:7], s[44:45], v1, s20, 0
	v_lshlrev_b64 v[6:7], 3, v[6:7]
	v_mov_b32_e32 v8, s55
	v_add_co_u32_e32 v6, vcc, s54, v6
	v_addc_co_u32_e32 v7, vcc, v8, v7, vcc
	global_load_dwordx2 v[8:9], v[6:7], off
	s_andn2_b64 vcc, exec, s[30:31]
	v_pk_mov_b32 v[10:11], v[4:5], v[4:5] op_sel:[0,1]
	s_mov_b64 s[80:81], s[74:75]
	s_mov_b64 s[82:83], s[72:73]
	s_mov_b32 s44, s91
	s_cbranch_vccnz .LBB56_31
.LBB56_33:                              ;   Parent Loop BB56_4 Depth=1
                                        ;     Parent Loop BB56_32 Depth=2
                                        ; =>    This Inner Loop Header: Depth=3
	global_load_dword v12, v36, s[80:81]
	global_load_dwordx2 v[14:15], v[10:11], off offset:-4
	global_load_dword v38, v36, s[82:83]
	s_add_i32 s44, s44, -1
	s_add_u32 s82, s82, -4
	s_addc_u32 s83, s83, -1
	s_add_u32 s80, s80, -4
	s_addc_u32 s81, s81, -1
	s_cmp_lt_u32 s44, 3
	s_waitcnt vmcnt(2)
	v_mul_f32_e32 v37, v8, v12
	v_mul_f32_e32 v39, v9, v12
	s_waitcnt vmcnt(1)
	v_pk_mul_f32 v[12:13], v[12:13], v[14:15] op_sel_hi:[0,1]
	s_waitcnt vmcnt(0)
	v_fma_f32 v14, v38, v14, -v37
	v_fma_f32 v15, v38, v15, -v39
	global_store_dwordx2 v[10:11], v[14:15], off offset:-4
	v_add_co_u32_e32 v10, vcc, -8, v10
	v_pk_fma_f32 v[8:9], v[8:9], v[38:39], v[12:13] op_sel_hi:[1,0,1]
	v_addc_co_u32_e32 v11, vcc, -1, v11, vcc
	s_cbranch_scc0 .LBB56_33
	s_branch .LBB56_31
.LBB56_34:                              ;   in Loop: Header=BB56_4 Depth=1
	s_or_b64 exec, exec, s[76:77]
	s_mov_b64 s[76:77], 0
.LBB56_35:                              ;   in Loop: Header=BB56_4 Depth=1
	s_andn2_b64 vcc, exec, s[76:77]
	s_cbranch_vccnz .LBB56_3
; %bb.36:                               ;   in Loop: Header=BB56_4 Depth=1
	s_andn2_b64 vcc, exec, s[38:39]
	s_mov_b64 s[76:77], -1
	s_cbranch_vccnz .LBB56_43
; %bb.37:                               ;   in Loop: Header=BB56_4 Depth=1
	s_and_saveexec_b64 s[76:77], s[0:1]
	s_cbranch_execz .LBB56_42
; %bb.38:                               ;   in Loop: Header=BB56_4 Depth=1
	s_lshl_b64 s[44:45], s[26:27], 3
	s_add_u32 s44, s54, s44
	s_addc_u32 s45, s55, s45
	v_mov_b32_e32 v1, s52
	v_add_co_u32_e32 v4, vcc, s53, v18
	s_add_u32 s48, s44, -8
	v_addc_co_u32_e32 v5, vcc, v19, v1, vcc
	s_addc_u32 s49, s45, -1
	s_mov_b64 s[78:79], 0
	v_mov_b32_e32 v1, v0
	s_branch .LBB56_40
.LBB56_39:                              ;   in Loop: Header=BB56_40 Depth=2
	v_add_u32_e32 v1, s4, v1
	v_cmp_le_i32_e32 vcc, s86, v1
	s_waitcnt vmcnt(0)
	global_store_dwordx2 v[6:7], v[8:9], off
	v_mov_b32_e32 v6, s61
	s_or_b64 s[78:79], vcc, s[78:79]
	v_add_co_u32_e32 v4, vcc, s60, v4
	v_addc_co_u32_e32 v5, vcc, v5, v6, vcc
	s_andn2_b64 exec, exec, s[78:79]
	s_cbranch_execz .LBB56_42
.LBB56_40:                              ;   Parent Loop BB56_4 Depth=1
                                        ; =>  This Loop Header: Depth=2
                                        ;       Child Loop BB56_41 Depth 3
	v_mad_i64_i32 v[6:7], s[44:45], v1, s20, 0
	v_lshlrev_b64 v[6:7], 3, v[6:7]
	v_mov_b32_e32 v8, s49
	v_add_co_u32_e32 v6, vcc, s48, v6
	v_addc_co_u32_e32 v7, vcc, v8, v7, vcc
	global_load_dwordx2 v[8:9], v[6:7], off
	s_andn2_b64 vcc, exec, s[30:31]
	v_pk_mov_b32 v[10:11], v[4:5], v[4:5] op_sel:[0,1]
	s_mov_b64 s[80:81], s[70:71]
	s_mov_b64 s[82:83], s[68:69]
	s_mov_b32 s44, s56
	s_cbranch_vccnz .LBB56_39
.LBB56_41:                              ;   Parent Loop BB56_4 Depth=1
                                        ;     Parent Loop BB56_40 Depth=2
                                        ; =>    This Inner Loop Header: Depth=3
	global_load_dwordx2 v[12:13], v[10:11], off offset:-4
	global_load_dword v14, v36, s[82:83]
	global_load_dword v38, v36, s[80:81]
	s_add_i32 s44, s44, -1
	s_add_u32 s82, s82, 4
	s_addc_u32 s83, s83, 0
	s_add_u32 s80, s80, 4
	s_addc_u32 s81, s81, 0
	s_cmp_eq_u32 s44, 0
	s_waitcnt vmcnt(1)
	v_mul_f32_e32 v40, v14, v12
	v_mul_f32_e32 v41, v14, v13
	s_waitcnt vmcnt(0)
	v_fmac_f32_e32 v40, v8, v38
	v_fmac_f32_e32 v41, v9, v38
	v_pk_mul_f32 v[12:13], v[38:39], v[12:13] op_sel_hi:[0,1]
	global_store_dwordx2 v[10:11], v[40:41], off offset:-4
	v_add_co_u32_e32 v10, vcc, 8, v10
	v_pk_fma_f32 v[8:9], v[8:9], v[14:15], v[12:13] op_sel_hi:[1,0,1] neg_lo:[0,0,1] neg_hi:[0,0,1]
	v_addc_co_u32_e32 v11, vcc, 0, v11, vcc
	s_cbranch_scc0 .LBB56_41
	s_branch .LBB56_39
.LBB56_42:                              ;   in Loop: Header=BB56_4 Depth=1
	s_or_b64 exec, exec, s[76:77]
	s_mov_b64 s[76:77], 0
.LBB56_43:                              ;   in Loop: Header=BB56_4 Depth=1
	s_andn2_b64 vcc, exec, s[76:77]
	s_cbranch_vccnz .LBB56_3
; %bb.44:                               ;   in Loop: Header=BB56_4 Depth=1
	s_andn2_b64 vcc, exec, s[40:41]
	s_mov_b64 s[76:77], -1
	s_cbranch_vccnz .LBB56_51
; %bb.45:                               ;   in Loop: Header=BB56_4 Depth=1
	s_and_saveexec_b64 s[76:77], s[0:1]
	s_cbranch_execz .LBB56_50
; %bb.46:                               ;   in Loop: Header=BB56_4 Depth=1
	s_lshl_b64 s[44:45], s[26:27], 3
	s_add_u32 s44, s54, s44
	s_addc_u32 s45, s55, s45
	v_mov_b32_e32 v1, s52
	v_add_co_u32_e32 v4, vcc, s53, v22
	s_add_u32 s48, s44, -8
	v_addc_co_u32_e32 v5, vcc, v23, v1, vcc
	s_addc_u32 s49, s45, -1
	s_mov_b64 s[78:79], 0
	v_mov_b32_e32 v1, v0
	s_branch .LBB56_48
.LBB56_47:                              ;   in Loop: Header=BB56_48 Depth=2
	v_add_u32_e32 v1, s4, v1
	v_cmp_le_i32_e32 vcc, s86, v1
	s_waitcnt vmcnt(0)
	global_store_dwordx2 v[6:7], v[8:9], off
	v_mov_b32_e32 v6, s61
	s_or_b64 s[78:79], vcc, s[78:79]
	v_add_co_u32_e32 v4, vcc, s60, v4
	v_addc_co_u32_e32 v5, vcc, v5, v6, vcc
	s_andn2_b64 exec, exec, s[78:79]
	s_cbranch_execz .LBB56_50
.LBB56_48:                              ;   Parent Loop BB56_4 Depth=1
                                        ; =>  This Loop Header: Depth=2
                                        ;       Child Loop BB56_49 Depth 3
	v_mad_i64_i32 v[6:7], s[44:45], v1, s20, 0
	v_lshlrev_b64 v[6:7], 3, v[6:7]
	v_mov_b32_e32 v8, s49
	v_add_co_u32_e32 v6, vcc, s48, v6
	v_addc_co_u32_e32 v7, vcc, v8, v7, vcc
	global_load_dwordx2 v[8:9], v[6:7], off
	s_andn2_b64 vcc, exec, s[30:31]
	v_pk_mov_b32 v[10:11], v[4:5], v[4:5] op_sel:[0,1]
	s_mov_b64 s[80:81], s[74:75]
	s_mov_b64 s[82:83], s[72:73]
	s_mov_b32 s44, s56
	s_cbranch_vccnz .LBB56_47
.LBB56_49:                              ;   Parent Loop BB56_4 Depth=1
                                        ;     Parent Loop BB56_48 Depth=2
                                        ; =>    This Inner Loop Header: Depth=3
	global_load_dwordx2 v[12:13], v[10:11], off offset:-4
	global_load_dword v14, v36, s[82:83]
	global_load_dword v38, v36, s[80:81]
	s_add_i32 s44, s44, -1
	s_add_u32 s82, s82, -4
	s_addc_u32 s83, s83, -1
	s_add_u32 s80, s80, -4
	s_addc_u32 s81, s81, -1
	s_cmp_eq_u32 s44, 0
	s_waitcnt vmcnt(1)
	v_mul_f32_e32 v40, v14, v12
	v_mul_f32_e32 v41, v14, v13
	s_waitcnt vmcnt(0)
	v_fmac_f32_e32 v40, v8, v38
	v_fmac_f32_e32 v41, v9, v38
	v_pk_mul_f32 v[12:13], v[38:39], v[12:13] op_sel_hi:[0,1]
	global_store_dwordx2 v[10:11], v[40:41], off offset:-4
	v_add_co_u32_e32 v10, vcc, -8, v10
	v_pk_fma_f32 v[8:9], v[8:9], v[14:15], v[12:13] op_sel_hi:[1,0,1] neg_lo:[0,0,1] neg_hi:[0,0,1]
	v_addc_co_u32_e32 v11, vcc, -1, v11, vcc
	s_cbranch_scc0 .LBB56_49
	s_branch .LBB56_47
.LBB56_50:                              ;   in Loop: Header=BB56_4 Depth=1
	s_or_b64 exec, exec, s[76:77]
	s_mov_b64 s[76:77], 0
.LBB56_51:                              ;   in Loop: Header=BB56_4 Depth=1
	s_andn2_b64 vcc, exec, s[76:77]
	s_cbranch_vccnz .LBB56_3
; %bb.52:                               ;   in Loop: Header=BB56_4 Depth=1
	s_andn2_b64 vcc, exec, s[42:43]
	s_mov_b64 s[72:73], -1
	s_cbranch_vccnz .LBB56_59
; %bb.53:                               ;   in Loop: Header=BB56_4 Depth=1
	s_and_saveexec_b64 s[72:73], s[2:3]
	s_cbranch_execz .LBB56_58
; %bb.54:                               ;   in Loop: Header=BB56_4 Depth=1
	s_lshl_b64 s[44:45], s[66:67], 3
	v_mov_b32_e32 v1, s52
	v_add_co_u32_e32 v4, vcc, s53, v24
	s_add_u32 s80, s54, s44
	v_addc_co_u32_e32 v5, vcc, v25, v1, vcc
	s_addc_u32 s81, s55, s45
	s_mov_b64 s[74:75], 0
	v_mov_b32_e32 v6, v0
	s_branch .LBB56_56
.LBB56_55:                              ;   in Loop: Header=BB56_56 Depth=2
	v_mov_b32_e32 v1, s81
	v_add_co_u32_e32 v8, vcc, s80, v8
	v_addc_co_u32_e32 v9, vcc, v1, v9, vcc
	v_add_u32_e32 v6, s4, v6
	v_cmp_le_i32_e32 vcc, s19, v6
	v_mov_b32_e32 v1, s65
	s_or_b64 s[74:75], vcc, s[74:75]
	v_add_co_u32_e32 v4, vcc, s64, v4
	v_addc_co_u32_e32 v5, vcc, v5, v1, vcc
	s_waitcnt vmcnt(0)
	global_store_dwordx2 v[8:9], v[10:11], off
	s_andn2_b64 exec, exec, s[74:75]
	s_cbranch_execz .LBB56_58
.LBB56_56:                              ;   Parent Loop BB56_4 Depth=1
                                        ; =>  This Loop Header: Depth=2
                                        ;       Child Loop BB56_57 Depth 3
	v_ashrrev_i32_e32 v7, 31, v6
	v_lshlrev_b64 v[8:9], 3, v[6:7]
	v_mov_b32_e32 v1, s55
	v_add_co_u32_e32 v10, vcc, s54, v8
	v_addc_co_u32_e32 v11, vcc, v1, v9, vcc
	global_load_dwordx2 v[10:11], v[10:11], off
	s_andn2_b64 vcc, exec, s[46:47]
	s_mov_b64 s[76:77], s[70:71]
	s_mov_b64 s[78:79], s[68:69]
	v_pk_mov_b32 v[12:13], v[4:5], v[4:5] op_sel:[0,1]
	s_mov_b32 s44, s18
	s_cbranch_vccnz .LBB56_55
.LBB56_57:                              ;   Parent Loop BB56_4 Depth=1
                                        ;     Parent Loop BB56_56 Depth=2
                                        ; =>    This Inner Loop Header: Depth=3
	v_mov_b32_e32 v1, s63
	v_add_co_u32_e32 v38, vcc, s62, v12
	global_load_dword v14, v36, s[76:77]
	v_addc_co_u32_e32 v39, vcc, v13, v1, vcc
	global_load_dwordx2 v[40:41], v[38:39], off
	global_load_dword v42, v36, s[78:79]
	s_add_i32 s44, s44, -1
	s_add_u32 s78, s78, 4
	s_addc_u32 s79, s79, 0
	s_add_u32 s76, s76, 4
	s_addc_u32 s77, s77, 0
	s_cmp_eq_u32 s44, 0
	s_waitcnt vmcnt(2)
	v_pk_mul_f32 v[44:45], v[10:11], v[14:15] op_sel_hi:[1,0]
	s_waitcnt vmcnt(1)
	v_mul_f32_e32 v46, v14, v40
	v_mul_f32_e32 v47, v14, v41
	s_waitcnt vmcnt(0)
	v_fmac_f32_e32 v46, v10, v42
	v_fmac_f32_e32 v47, v11, v42
	v_pk_fma_f32 v[10:11], v[42:43], v[40:41], v[44:45] op_sel_hi:[0,1,1] neg_lo:[0,0,1] neg_hi:[0,0,1]
	global_store_dwordx2 v[12:13], v[46:47], off
	v_pk_mov_b32 v[12:13], v[38:39], v[38:39] op_sel:[0,1]
	s_cbranch_scc0 .LBB56_57
	s_branch .LBB56_55
.LBB56_58:                              ;   in Loop: Header=BB56_4 Depth=1
	s_or_b64 exec, exec, s[72:73]
	s_mov_b64 s[72:73], 0
.LBB56_59:                              ;   in Loop: Header=BB56_4 Depth=1
	s_andn2_b64 vcc, exec, s[72:73]
	s_cbranch_vccnz .LBB56_3
; %bb.60:                               ;   in Loop: Header=BB56_4 Depth=1
	s_add_u32 s72, s5, s85
	s_addc_u32 s73, s21, s84
	v_mov_b32_e32 v1, s52
	v_add_co_u32_e32 v4, vcc, s53, v28
	v_readlane_b32 s44, v48, 0
	s_add_u32 s74, s57, s51
	v_addc_co_u32_e32 v5, vcc, v29, v1, vcc
	v_readlane_b32 s45, v48, 1
	s_addc_u32 s75, s92, s50
	s_andn2_b64 vcc, exec, s[44:45]
	s_mov_b64 s[76:77], -1
	s_cbranch_vccnz .LBB56_68
; %bb.61:                               ;   in Loop: Header=BB56_4 Depth=1
	s_and_saveexec_b64 s[76:77], s[2:3]
	s_cbranch_execz .LBB56_67
; %bb.62:                               ;   in Loop: Header=BB56_4 Depth=1
	s_lshl_b64 s[44:45], s[66:67], 3
	v_mov_b32_e32 v1, s52
	v_add_co_u32_e32 v6, vcc, s53, v26
	s_add_u32 s50, s54, s44
	v_addc_co_u32_e32 v1, vcc, v27, v1, vcc
	s_addc_u32 s51, s55, s45
	s_mov_b64 s[78:79], 0
	v_pk_mov_b32 v[8:9], v[4:5], v[4:5] op_sel:[0,1]
	v_mov_b32_e32 v10, v0
	s_branch .LBB56_64
.LBB56_63:                              ;   in Loop: Header=BB56_64 Depth=2
	v_mov_b32_e32 v7, s55
	v_add_co_u32_e32 v12, vcc, s54, v12
	v_addc_co_u32_e32 v13, vcc, v7, v13, vcc
	v_mov_b32_e32 v7, s65
	v_add_co_u32_e32 v6, vcc, s64, v6
	v_add_u32_e32 v10, s4, v10
	v_addc_co_u32_e32 v1, vcc, v1, v7, vcc
	v_cmp_le_i32_e32 vcc, s19, v10
	s_or_b64 s[78:79], vcc, s[78:79]
	v_add_co_u32_e32 v8, vcc, s64, v8
	v_addc_co_u32_e32 v9, vcc, v9, v7, vcc
	s_waitcnt vmcnt(0)
	global_store_dwordx2 v[12:13], v[14:15], off
	s_andn2_b64 exec, exec, s[78:79]
	s_cbranch_execz .LBB56_67
.LBB56_64:                              ;   Parent Loop BB56_4 Depth=1
                                        ; =>  This Loop Header: Depth=2
                                        ;       Child Loop BB56_66 Depth 3
	v_ashrrev_i32_e32 v11, 31, v10
	v_lshlrev_b64 v[12:13], 3, v[10:11]
	v_mov_b32_e32 v7, s51
	v_add_co_u32_e32 v14, vcc, s50, v12
	v_addc_co_u32_e32 v15, vcc, v7, v13, vcc
	global_load_dwordx2 v[14:15], v[14:15], off
	s_andn2_b64 vcc, exec, s[46:47]
	s_cbranch_vccnz .LBB56_63
; %bb.65:                               ;   in Loop: Header=BB56_64 Depth=2
	s_mov_b64 s[80:81], 0
	s_mov_b64 s[82:83], s[74:75]
	;; [unrolled: 1-line block ×3, first 2 shown]
	s_mov_b32 s48, s18
.LBB56_66:                              ;   Parent Loop BB56_4 Depth=1
                                        ;     Parent Loop BB56_64 Depth=2
                                        ; =>    This Inner Loop Header: Depth=3
	v_mov_b32_e32 v7, s81
	v_add_co_u32_e32 v42, vcc, s80, v6
	v_addc_co_u32_e32 v43, vcc, v1, v7, vcc
	global_load_dword v38, v36, s[84:85]
	global_load_dword v40, v36, s[82:83]
	s_add_i32 s48, s48, -1
	global_load_dwordx2 v[42:43], v[42:43], off
	v_add_co_u32_e32 v44, vcc, s80, v8
	s_sub_u32 s80, s80, s62
	s_subb_u32 s81, s81, s63
	s_add_u32 s84, s84, -4
	s_addc_u32 s85, s85, -1
	s_add_u32 s82, s82, -4
	v_addc_co_u32_e32 v45, vcc, v9, v7, vcc
	s_addc_u32 s83, s83, -1
	s_cmp_eq_u32 s48, 0
	s_waitcnt vmcnt(0)
	v_mul_f32_e32 v7, v40, v42
	v_mul_f32_e32 v11, v40, v43
	v_pk_mul_f32 v[42:43], v[38:39], v[42:43] op_sel_hi:[0,1]
	v_fma_f32 v46, v14, v38, -v7
	v_fma_f32 v47, v15, v38, -v11
	v_pk_fma_f32 v[14:15], v[14:15], v[40:41], v[42:43] op_sel_hi:[1,0,1]
	global_store_dwordx2 v[44:45], v[46:47], off offset:-4
	s_cbranch_scc0 .LBB56_66
	s_branch .LBB56_63
.LBB56_67:                              ;   in Loop: Header=BB56_4 Depth=1
	s_or_b64 exec, exec, s[76:77]
	s_mov_b64 s[76:77], 0
.LBB56_68:                              ;   in Loop: Header=BB56_4 Depth=1
	s_andn2_b64 vcc, exec, s[76:77]
	s_cbranch_vccnz .LBB56_3
; %bb.69:                               ;   in Loop: Header=BB56_4 Depth=1
	v_readlane_b32 s44, v48, 2
	v_readlane_b32 s45, v48, 3
	s_andn2_b64 vcc, exec, s[44:45]
	s_mov_b64 s[76:77], -1
	s_cbranch_vccnz .LBB56_76
; %bb.70:                               ;   in Loop: Header=BB56_4 Depth=1
	s_and_saveexec_b64 s[76:77], s[2:3]
	s_cbranch_execz .LBB56_75
; %bb.71:                               ;   in Loop: Header=BB56_4 Depth=1
	v_mov_b32_e32 v1, s52
	v_add_co_u32_e32 v6, vcc, s53, v30
	v_addc_co_u32_e32 v7, vcc, v31, v1, vcc
	s_mov_b64 s[78:79], 0
	v_mov_b32_e32 v8, v0
	s_branch .LBB56_73
.LBB56_72:                              ;   in Loop: Header=BB56_73 Depth=2
	v_add_u32_e32 v8, s4, v8
	v_cmp_le_i32_e32 vcc, s19, v8
	v_mov_b32_e32 v1, s65
	s_or_b64 s[78:79], vcc, s[78:79]
	v_add_co_u32_e32 v6, vcc, s64, v6
	v_addc_co_u32_e32 v7, vcc, v7, v1, vcc
	s_waitcnt vmcnt(0)
	global_store_dwordx2 v[10:11], v[12:13], off
	s_andn2_b64 exec, exec, s[78:79]
	s_cbranch_execz .LBB56_75
.LBB56_73:                              ;   Parent Loop BB56_4 Depth=1
                                        ; =>  This Loop Header: Depth=2
                                        ;       Child Loop BB56_74 Depth 3
	v_ashrrev_i32_e32 v9, 31, v8
	v_lshlrev_b64 v[10:11], 3, v[8:9]
	v_mov_b32_e32 v1, s55
	v_add_co_u32_e32 v10, vcc, s54, v10
	v_addc_co_u32_e32 v11, vcc, v1, v11, vcc
	global_load_dwordx2 v[12:13], v[10:11], off
	s_andn2_b64 vcc, exec, s[46:47]
	v_pk_mov_b32 v[14:15], v[6:7], v[6:7] op_sel:[0,1]
	s_mov_b32 s48, s18
	s_mov_b64 s[80:81], s[68:69]
	s_mov_b64 s[82:83], s[70:71]
	s_cbranch_vccnz .LBB56_72
.LBB56_74:                              ;   Parent Loop BB56_4 Depth=1
                                        ;     Parent Loop BB56_73 Depth=2
                                        ; =>    This Inner Loop Header: Depth=3
	global_load_dword v38, v36, s[82:83]
	global_load_dwordx2 v[40:41], v[14:15], off offset:-4
	global_load_dword v42, v36, s[80:81]
	s_add_u32 s82, s82, 4
	s_addc_u32 s83, s83, 0
	s_add_u32 s80, s80, 4
	v_mov_b32_e32 v1, s63
	s_addc_u32 s81, s81, 0
	s_add_i32 s48, s48, -1
	s_cmp_eq_u32 s48, 0
	s_waitcnt vmcnt(2)
	v_mul_f32_e32 v9, v12, v38
	v_mul_f32_e32 v37, v13, v38
	s_waitcnt vmcnt(1)
	v_pk_mul_f32 v[38:39], v[38:39], v[40:41] op_sel_hi:[0,1]
	s_waitcnt vmcnt(0)
	v_fma_f32 v40, v42, v40, -v9
	v_fma_f32 v41, v42, v41, -v37
	global_store_dwordx2 v[14:15], v[40:41], off offset:-4
	v_add_co_u32_e32 v14, vcc, s62, v14
	v_pk_fma_f32 v[12:13], v[12:13], v[42:43], v[38:39] op_sel_hi:[1,0,1]
	v_addc_co_u32_e32 v15, vcc, v15, v1, vcc
	s_cbranch_scc0 .LBB56_74
	s_branch .LBB56_72
.LBB56_75:                              ;   in Loop: Header=BB56_4 Depth=1
	s_or_b64 exec, exec, s[76:77]
	s_mov_b64 s[76:77], 0
.LBB56_76:                              ;   in Loop: Header=BB56_4 Depth=1
	s_andn2_b64 vcc, exec, s[76:77]
	s_cbranch_vccnz .LBB56_3
; %bb.77:                               ;   in Loop: Header=BB56_4 Depth=1
	v_readlane_b32 s44, v48, 4
	v_readlane_b32 s45, v48, 5
	s_andn2_b64 vcc, exec, s[44:45]
	s_mov_b64 s[76:77], -1
	s_cbranch_vccnz .LBB56_84
; %bb.78:                               ;   in Loop: Header=BB56_4 Depth=1
	s_and_saveexec_b64 s[76:77], s[2:3]
	s_cbranch_execz .LBB56_83
; %bb.79:                               ;   in Loop: Header=BB56_4 Depth=1
	s_mov_b64 s[78:79], 0
	v_mov_b32_e32 v6, v0
	s_branch .LBB56_81
.LBB56_80:                              ;   in Loop: Header=BB56_81 Depth=2
	v_add_u32_e32 v6, s4, v6
	v_cmp_le_i32_e32 vcc, s19, v6
	v_mov_b32_e32 v1, s65
	s_or_b64 s[78:79], vcc, s[78:79]
	v_add_co_u32_e32 v4, vcc, s64, v4
	v_addc_co_u32_e32 v5, vcc, v5, v1, vcc
	s_waitcnt vmcnt(0)
	global_store_dwordx2 v[8:9], v[10:11], off
	s_andn2_b64 exec, exec, s[78:79]
	s_cbranch_execz .LBB56_83
.LBB56_81:                              ;   Parent Loop BB56_4 Depth=1
                                        ; =>  This Loop Header: Depth=2
                                        ;       Child Loop BB56_82 Depth 3
	v_ashrrev_i32_e32 v7, 31, v6
	v_lshlrev_b64 v[8:9], 3, v[6:7]
	v_mov_b32_e32 v1, s55
	v_add_co_u32_e32 v8, vcc, s54, v8
	v_addc_co_u32_e32 v9, vcc, v1, v9, vcc
	global_load_dwordx2 v[10:11], v[8:9], off
	s_andn2_b64 vcc, exec, s[46:47]
	v_pk_mov_b32 v[12:13], v[4:5], v[4:5] op_sel:[0,1]
	s_mov_b64 s[80:81], s[74:75]
	s_mov_b64 s[82:83], s[72:73]
	s_mov_b32 s48, s93
	s_cbranch_vccnz .LBB56_80
.LBB56_82:                              ;   Parent Loop BB56_4 Depth=1
                                        ;     Parent Loop BB56_81 Depth=2
                                        ; =>    This Inner Loop Header: Depth=3
	global_load_dword v14, v36, s[80:81]
	global_load_dwordx2 v[38:39], v[12:13], off offset:-4
	global_load_dword v40, v36, s[82:83]
	s_add_i32 s48, s48, -1
	s_add_u32 s82, s82, -4
	s_addc_u32 s83, s83, -1
	s_add_u32 s80, s80, -4
	v_mov_b32_e32 v1, s95
	s_addc_u32 s81, s81, -1
	s_cmp_lt_u32 s48, 3
	s_waitcnt vmcnt(2)
	v_mul_f32_e32 v7, v10, v14
	v_mul_f32_e32 v37, v11, v14
	s_waitcnt vmcnt(1)
	v_pk_mul_f32 v[14:15], v[14:15], v[38:39] op_sel_hi:[0,1]
	s_waitcnt vmcnt(0)
	v_fma_f32 v38, v40, v38, -v7
	v_fma_f32 v39, v40, v39, -v37
	global_store_dwordx2 v[12:13], v[38:39], off offset:-4
	v_add_co_u32_e32 v12, vcc, s94, v12
	v_pk_fma_f32 v[10:11], v[10:11], v[40:41], v[14:15] op_sel_hi:[1,0,1]
	v_addc_co_u32_e32 v13, vcc, v13, v1, vcc
	s_cbranch_scc0 .LBB56_82
	s_branch .LBB56_80
.LBB56_83:                              ;   in Loop: Header=BB56_4 Depth=1
	s_or_b64 exec, exec, s[76:77]
	s_mov_b64 s[76:77], 0
.LBB56_84:                              ;   in Loop: Header=BB56_4 Depth=1
	s_andn2_b64 vcc, exec, s[76:77]
	s_cbranch_vccnz .LBB56_3
; %bb.85:                               ;   in Loop: Header=BB56_4 Depth=1
	v_readlane_b32 s44, v48, 6
	v_readlane_b32 s45, v48, 7
	s_andn2_b64 vcc, exec, s[44:45]
	s_mov_b64 s[76:77], -1
	s_cbranch_vccnz .LBB56_92
; %bb.86:                               ;   in Loop: Header=BB56_4 Depth=1
	s_and_saveexec_b64 s[76:77], s[2:3]
	s_cbranch_execz .LBB56_91
; %bb.87:                               ;   in Loop: Header=BB56_4 Depth=1
	s_lshl_b64 s[44:45], s[66:67], 3
	v_mov_b32_e32 v1, s52
	v_add_co_u32_e32 v4, vcc, s53, v32
	s_add_u32 s50, s54, s44
	v_addc_co_u32_e32 v5, vcc, v33, v1, vcc
	s_addc_u32 s51, s55, s45
	s_mov_b64 s[78:79], 0
	v_mov_b32_e32 v6, v0
	s_branch .LBB56_89
.LBB56_88:                              ;   in Loop: Header=BB56_89 Depth=2
	v_add_u32_e32 v6, s4, v6
	v_cmp_le_i32_e32 vcc, s19, v6
	v_mov_b32_e32 v1, s65
	s_or_b64 s[78:79], vcc, s[78:79]
	v_add_co_u32_e32 v4, vcc, s64, v4
	v_addc_co_u32_e32 v5, vcc, v5, v1, vcc
	s_waitcnt vmcnt(0)
	global_store_dwordx2 v[8:9], v[10:11], off
	s_andn2_b64 exec, exec, s[78:79]
	s_cbranch_execz .LBB56_91
.LBB56_89:                              ;   Parent Loop BB56_4 Depth=1
                                        ; =>  This Loop Header: Depth=2
                                        ;       Child Loop BB56_90 Depth 3
	v_ashrrev_i32_e32 v7, 31, v6
	v_lshlrev_b64 v[8:9], 3, v[6:7]
	v_mov_b32_e32 v1, s51
	v_add_co_u32_e32 v8, vcc, s50, v8
	v_addc_co_u32_e32 v9, vcc, v1, v9, vcc
	global_load_dwordx2 v[10:11], v[8:9], off
	s_andn2_b64 vcc, exec, s[46:47]
	v_pk_mov_b32 v[12:13], v[4:5], v[4:5] op_sel:[0,1]
	s_mov_b64 s[80:81], s[70:71]
	s_mov_b64 s[82:83], s[68:69]
	s_mov_b32 s48, s18
	s_cbranch_vccnz .LBB56_88
.LBB56_90:                              ;   Parent Loop BB56_4 Depth=1
                                        ;     Parent Loop BB56_89 Depth=2
                                        ; =>    This Inner Loop Header: Depth=3
	global_load_dwordx2 v[14:15], v[12:13], off offset:-4
	global_load_dword v38, v36, s[82:83]
	global_load_dword v40, v36, s[80:81]
	s_add_i32 s48, s48, -1
	s_add_u32 s82, s82, 4
	s_addc_u32 s83, s83, 0
	s_add_u32 s80, s80, 4
	v_mov_b32_e32 v1, s63
	s_addc_u32 s81, s81, 0
	s_cmp_eq_u32 s48, 0
	s_waitcnt vmcnt(1)
	v_mul_f32_e32 v42, v38, v14
	v_mul_f32_e32 v43, v38, v15
	s_waitcnt vmcnt(0)
	v_fmac_f32_e32 v42, v10, v40
	v_fmac_f32_e32 v43, v11, v40
	v_pk_mul_f32 v[14:15], v[40:41], v[14:15] op_sel_hi:[0,1]
	global_store_dwordx2 v[12:13], v[42:43], off offset:-4
	v_add_co_u32_e32 v12, vcc, s62, v12
	v_pk_fma_f32 v[10:11], v[10:11], v[38:39], v[14:15] op_sel_hi:[1,0,1] neg_lo:[0,0,1] neg_hi:[0,0,1]
	v_addc_co_u32_e32 v13, vcc, v13, v1, vcc
	s_cbranch_scc0 .LBB56_90
	s_branch .LBB56_88
.LBB56_91:                              ;   in Loop: Header=BB56_4 Depth=1
	s_or_b64 exec, exec, s[76:77]
	s_mov_b64 s[76:77], 0
.LBB56_92:                              ;   in Loop: Header=BB56_4 Depth=1
	s_andn2_b64 vcc, exec, s[76:77]
	s_cbranch_vccnz .LBB56_3
; %bb.93:                               ;   in Loop: Header=BB56_4 Depth=1
	s_mov_b64 s[68:69], exec
	v_readlane_b32 s44, v48, 8
	v_readlane_b32 s45, v48, 9
	s_and_b64 s[44:45], s[68:69], s[44:45]
	s_mov_b64 exec, s[44:45]
	s_cbranch_execz .LBB56_2
; %bb.94:                               ;   in Loop: Header=BB56_4 Depth=1
	s_lshl_b64 s[44:45], s[66:67], 3
	v_mov_b32_e32 v1, s52
	v_add_co_u32_e32 v4, vcc, s53, v34
	s_add_u32 s50, s54, s44
	v_addc_co_u32_e32 v5, vcc, v35, v1, vcc
	s_addc_u32 s51, s55, s45
	s_mov_b64 s[70:71], 0
	v_mov_b32_e32 v6, v0
	s_branch .LBB56_96
.LBB56_95:                              ;   in Loop: Header=BB56_96 Depth=2
	v_add_u32_e32 v6, s4, v6
	v_cmp_le_i32_e32 vcc, s19, v6
	v_mov_b32_e32 v1, s65
	s_or_b64 s[70:71], vcc, s[70:71]
	v_add_co_u32_e32 v4, vcc, s64, v4
	v_addc_co_u32_e32 v5, vcc, v5, v1, vcc
	s_waitcnt vmcnt(0)
	global_store_dwordx2 v[8:9], v[10:11], off
	s_andn2_b64 exec, exec, s[70:71]
	s_cbranch_execz .LBB56_2
.LBB56_96:                              ;   Parent Loop BB56_4 Depth=1
                                        ; =>  This Loop Header: Depth=2
                                        ;       Child Loop BB56_97 Depth 3
	v_ashrrev_i32_e32 v7, 31, v6
	v_lshlrev_b64 v[8:9], 3, v[6:7]
	v_mov_b32_e32 v1, s51
	v_add_co_u32_e32 v8, vcc, s50, v8
	v_addc_co_u32_e32 v9, vcc, v1, v9, vcc
	global_load_dwordx2 v[10:11], v[8:9], off
	s_andn2_b64 vcc, exec, s[46:47]
	v_pk_mov_b32 v[12:13], v[4:5], v[4:5] op_sel:[0,1]
	s_mov_b64 s[76:77], s[74:75]
	s_mov_b64 s[78:79], s[72:73]
	s_mov_b32 s48, s18
	s_cbranch_vccnz .LBB56_95
.LBB56_97:                              ;   Parent Loop BB56_4 Depth=1
                                        ;     Parent Loop BB56_96 Depth=2
                                        ; =>    This Inner Loop Header: Depth=3
	global_load_dwordx2 v[14:15], v[12:13], off offset:-4
	global_load_dword v38, v36, s[78:79]
	global_load_dword v40, v36, s[76:77]
	s_add_i32 s48, s48, -1
	s_add_u32 s78, s78, -4
	s_addc_u32 s79, s79, -1
	s_add_u32 s76, s76, -4
	v_mov_b32_e32 v1, s95
	s_addc_u32 s77, s77, -1
	s_cmp_eq_u32 s48, 0
	s_waitcnt vmcnt(1)
	v_mul_f32_e32 v42, v38, v14
	v_mul_f32_e32 v43, v38, v15
	s_waitcnt vmcnt(0)
	v_fmac_f32_e32 v42, v10, v40
	v_fmac_f32_e32 v43, v11, v40
	v_pk_mul_f32 v[14:15], v[40:41], v[14:15] op_sel_hi:[0,1]
	global_store_dwordx2 v[12:13], v[42:43], off offset:-4
	v_add_co_u32_e32 v12, vcc, s94, v12
	v_pk_fma_f32 v[10:11], v[10:11], v[38:39], v[14:15] op_sel_hi:[1,0,1] neg_lo:[0,0,1] neg_hi:[0,0,1]
	v_addc_co_u32_e32 v13, vcc, v13, v1, vcc
	s_cbranch_scc0 .LBB56_97
	s_branch .LBB56_95
.LBB56_98:
	s_endpgm
	.section	.rodata,"a",@progbits
	.p2align	6, 0x0
	.amdhsa_kernel _ZN9rocsolver6v33100L11lasr_kernelI19rocblas_complex_numIfEfPS3_iEEv13rocblas_side_14rocblas_pivot_15rocblas_direct_T2_S8_PT0_lSA_lT1_lS8_lS8_
		.amdhsa_group_segment_fixed_size 0
		.amdhsa_private_segment_fixed_size 0
		.amdhsa_kernarg_size 352
		.amdhsa_user_sgpr_count 6
		.amdhsa_user_sgpr_private_segment_buffer 1
		.amdhsa_user_sgpr_dispatch_ptr 0
		.amdhsa_user_sgpr_queue_ptr 0
		.amdhsa_user_sgpr_kernarg_segment_ptr 1
		.amdhsa_user_sgpr_dispatch_id 0
		.amdhsa_user_sgpr_flat_scratch_init 0
		.amdhsa_user_sgpr_kernarg_preload_length 0
		.amdhsa_user_sgpr_kernarg_preload_offset 0
		.amdhsa_user_sgpr_private_segment_size 0
		.amdhsa_uses_dynamic_stack 0
		.amdhsa_system_sgpr_private_segment_wavefront_offset 0
		.amdhsa_system_sgpr_workgroup_id_x 1
		.amdhsa_system_sgpr_workgroup_id_y 0
		.amdhsa_system_sgpr_workgroup_id_z 1
		.amdhsa_system_sgpr_workgroup_info 0
		.amdhsa_system_vgpr_workitem_id 0
		.amdhsa_next_free_vgpr 49
		.amdhsa_next_free_sgpr 96
		.amdhsa_accum_offset 52
		.amdhsa_reserve_vcc 1
		.amdhsa_reserve_flat_scratch 0
		.amdhsa_float_round_mode_32 0
		.amdhsa_float_round_mode_16_64 0
		.amdhsa_float_denorm_mode_32 3
		.amdhsa_float_denorm_mode_16_64 3
		.amdhsa_dx10_clamp 1
		.amdhsa_ieee_mode 1
		.amdhsa_fp16_overflow 0
		.amdhsa_tg_split 0
		.amdhsa_exception_fp_ieee_invalid_op 0
		.amdhsa_exception_fp_denorm_src 0
		.amdhsa_exception_fp_ieee_div_zero 0
		.amdhsa_exception_fp_ieee_overflow 0
		.amdhsa_exception_fp_ieee_underflow 0
		.amdhsa_exception_fp_ieee_inexact 0
		.amdhsa_exception_int_div_zero 0
	.end_amdhsa_kernel
	.section	.text._ZN9rocsolver6v33100L11lasr_kernelI19rocblas_complex_numIfEfPS3_iEEv13rocblas_side_14rocblas_pivot_15rocblas_direct_T2_S8_PT0_lSA_lT1_lS8_lS8_,"axG",@progbits,_ZN9rocsolver6v33100L11lasr_kernelI19rocblas_complex_numIfEfPS3_iEEv13rocblas_side_14rocblas_pivot_15rocblas_direct_T2_S8_PT0_lSA_lT1_lS8_lS8_,comdat
.Lfunc_end56:
	.size	_ZN9rocsolver6v33100L11lasr_kernelI19rocblas_complex_numIfEfPS3_iEEv13rocblas_side_14rocblas_pivot_15rocblas_direct_T2_S8_PT0_lSA_lT1_lS8_lS8_, .Lfunc_end56-_ZN9rocsolver6v33100L11lasr_kernelI19rocblas_complex_numIfEfPS3_iEEv13rocblas_side_14rocblas_pivot_15rocblas_direct_T2_S8_PT0_lSA_lT1_lS8_lS8_
                                        ; -- End function
	.section	.AMDGPU.csdata,"",@progbits
; Kernel info:
; codeLenInByte = 4668
; NumSgprs: 100
; NumVgprs: 49
; NumAgprs: 0
; TotalNumVgprs: 49
; ScratchSize: 0
; MemoryBound: 0
; FloatMode: 240
; IeeeMode: 1
; LDSByteSize: 0 bytes/workgroup (compile time only)
; SGPRBlocks: 12
; VGPRBlocks: 6
; NumSGPRsForWavesPerEU: 100
; NumVGPRsForWavesPerEU: 49
; AccumOffset: 52
; Occupancy: 8
; WaveLimiterHint : 0
; COMPUTE_PGM_RSRC2:SCRATCH_EN: 0
; COMPUTE_PGM_RSRC2:USER_SGPR: 6
; COMPUTE_PGM_RSRC2:TRAP_HANDLER: 0
; COMPUTE_PGM_RSRC2:TGID_X_EN: 1
; COMPUTE_PGM_RSRC2:TGID_Y_EN: 0
; COMPUTE_PGM_RSRC2:TGID_Z_EN: 1
; COMPUTE_PGM_RSRC2:TIDIG_COMP_CNT: 0
; COMPUTE_PGM_RSRC3_GFX90A:ACCUM_OFFSET: 12
; COMPUTE_PGM_RSRC3_GFX90A:TG_SPLIT: 0
	.section	.text._ZN9rocsolver6v33100L11swap_kernelI19rocblas_complex_numIfEiEEvT0_PT_S4_S6_S4_,"axG",@progbits,_ZN9rocsolver6v33100L11swap_kernelI19rocblas_complex_numIfEiEEvT0_PT_S4_S6_S4_,comdat
	.globl	_ZN9rocsolver6v33100L11swap_kernelI19rocblas_complex_numIfEiEEvT0_PT_S4_S6_S4_ ; -- Begin function _ZN9rocsolver6v33100L11swap_kernelI19rocblas_complex_numIfEiEEvT0_PT_S4_S6_S4_
	.p2align	8
	.type	_ZN9rocsolver6v33100L11swap_kernelI19rocblas_complex_numIfEiEEvT0_PT_S4_S6_S4_,@function
_ZN9rocsolver6v33100L11swap_kernelI19rocblas_complex_numIfEiEEvT0_PT_S4_S6_S4_: ; @_ZN9rocsolver6v33100L11swap_kernelI19rocblas_complex_numIfEiEEvT0_PT_S4_S6_S4_
; %bb.0:
	s_load_dword s16, s[4:5], 0x0
	s_waitcnt lgkmcnt(0)
	s_cmp_lt_i32 s16, 1
	s_cbranch_scc1 .LBB57_10
; %bb.1:
	s_load_dword s0, s[4:5], 0x28
	s_load_dword s1, s[4:5], 0x34
	s_load_dwordx2 s[2:3], s[4:5], 0x8
	s_load_dword s12, s[4:5], 0x10
	s_load_dwordx2 s[8:9], s[4:5], 0x18
	s_load_dword s10, s[4:5], 0x20
	s_waitcnt lgkmcnt(0)
	s_and_b32 s1, s1, 0xffff
	s_mul_i32 s6, s6, s1
	s_cmp_eq_u32 s12, 1
	s_mul_i32 s4, s0, s1
	s_cselect_b64 s[0:1], -1, 0
	s_cmp_eq_u32 s10, 1
	v_add_u32_e32 v0, s6, v0
	s_cselect_b64 s[6:7], -1, 0
	s_and_b64 s[14:15], s[0:1], s[6:7]
	v_cmp_gt_i32_e64 s[0:1], s16, v0
	s_mov_b64 s[6:7], -1
	s_and_b64 vcc, exec, s[14:15]
	s_cbranch_vccnz .LBB57_6
; %bb.2:
	s_and_saveexec_b64 s[6:7], s[0:1]
	s_cbranch_execz .LBB57_5
; %bb.3:
	v_mad_i64_i32 v[2:3], s[14:15], s10, v0, 0
	v_lshlrev_b64 v[2:3], 3, v[2:3]
	v_mov_b32_e32 v1, s9
	v_add_co_u32_e32 v2, vcc, s8, v2
	v_mad_i64_i32 v[4:5], s[14:15], s12, v0, 0
	v_addc_co_u32_e32 v3, vcc, v1, v3, vcc
	s_mul_hi_i32 s11, s10, s4
	s_mul_i32 s10, s10, s4
	v_lshlrev_b64 v[4:5], 3, v[4:5]
	s_mul_hi_i32 s13, s12, s4
	s_mul_i32 s12, s12, s4
	s_lshl_b64 s[10:11], s[10:11], 3
	v_mov_b32_e32 v1, s3
	v_add_co_u32_e32 v4, vcc, s2, v4
	s_lshl_b64 s[12:13], s[12:13], 3
	v_addc_co_u32_e32 v5, vcc, v1, v5, vcc
	s_mov_b64 s[14:15], 0
	v_mov_b32_e32 v1, s11
	v_mov_b32_e32 v6, s13
	;; [unrolled: 1-line block ×3, first 2 shown]
.LBB57_4:                               ; =>This Inner Loop Header: Depth=1
	global_load_dwordx2 v[8:9], v[4:5], off
	global_load_dwordx2 v[10:11], v[2:3], off
	v_add_u32_e32 v7, s4, v7
	v_cmp_le_i32_e32 vcc, s16, v7
	s_or_b64 s[14:15], vcc, s[14:15]
	s_waitcnt vmcnt(1)
	global_store_dwordx2 v[2:3], v[8:9], off
	s_waitcnt vmcnt(1)
	global_store_dwordx2 v[4:5], v[10:11], off
	v_add_co_u32_e32 v2, vcc, s10, v2
	v_addc_co_u32_e32 v3, vcc, v3, v1, vcc
	v_add_co_u32_e32 v4, vcc, s12, v4
	v_addc_co_u32_e32 v5, vcc, v5, v6, vcc
	s_andn2_b64 exec, exec, s[14:15]
	s_cbranch_execnz .LBB57_4
.LBB57_5:
	s_or_b64 exec, exec, s[6:7]
	s_mov_b64 s[6:7], 0
.LBB57_6:
	s_andn2_b64 vcc, exec, s[6:7]
	s_cbranch_vccnz .LBB57_10
; %bb.7:
	s_and_saveexec_b64 s[6:7], s[0:1]
	s_cbranch_execz .LBB57_10
; %bb.8:
	s_ashr_i32 s5, s4, 31
	v_ashrrev_i32_e32 v1, 31, v0
	s_lshl_b64 s[0:1], s[4:5], 3
	v_lshlrev_b64 v[2:3], 3, v[0:1]
	s_mov_b64 s[6:7], 0
	v_mov_b32_e32 v1, s9
	v_mov_b32_e32 v4, s3
	;; [unrolled: 1-line block ×3, first 2 shown]
.LBB57_9:                               ; =>This Inner Loop Header: Depth=1
	v_add_co_u32_e32 v6, vcc, s8, v2
	v_addc_co_u32_e32 v7, vcc, v1, v3, vcc
	v_add_co_u32_e32 v8, vcc, s2, v2
	v_addc_co_u32_e32 v9, vcc, v4, v3, vcc
	global_load_dwordx2 v[10:11], v[8:9], off
	global_load_dwordx2 v[12:13], v[6:7], off
	v_add_co_u32_e32 v2, vcc, s0, v2
	v_add_u32_e32 v0, s4, v0
	v_addc_co_u32_e32 v3, vcc, v3, v5, vcc
	v_cmp_le_i32_e32 vcc, s16, v0
	s_or_b64 s[6:7], vcc, s[6:7]
	s_waitcnt vmcnt(1)
	global_store_dwordx2 v[6:7], v[10:11], off
	s_waitcnt vmcnt(1)
	global_store_dwordx2 v[8:9], v[12:13], off
	s_andn2_b64 exec, exec, s[6:7]
	s_cbranch_execnz .LBB57_9
.LBB57_10:
	s_endpgm
	.section	.rodata,"a",@progbits
	.p2align	6, 0x0
	.amdhsa_kernel _ZN9rocsolver6v33100L11swap_kernelI19rocblas_complex_numIfEiEEvT0_PT_S4_S6_S4_
		.amdhsa_group_segment_fixed_size 0
		.amdhsa_private_segment_fixed_size 0
		.amdhsa_kernarg_size 296
		.amdhsa_user_sgpr_count 6
		.amdhsa_user_sgpr_private_segment_buffer 1
		.amdhsa_user_sgpr_dispatch_ptr 0
		.amdhsa_user_sgpr_queue_ptr 0
		.amdhsa_user_sgpr_kernarg_segment_ptr 1
		.amdhsa_user_sgpr_dispatch_id 0
		.amdhsa_user_sgpr_flat_scratch_init 0
		.amdhsa_user_sgpr_kernarg_preload_length 0
		.amdhsa_user_sgpr_kernarg_preload_offset 0
		.amdhsa_user_sgpr_private_segment_size 0
		.amdhsa_uses_dynamic_stack 0
		.amdhsa_system_sgpr_private_segment_wavefront_offset 0
		.amdhsa_system_sgpr_workgroup_id_x 1
		.amdhsa_system_sgpr_workgroup_id_y 0
		.amdhsa_system_sgpr_workgroup_id_z 0
		.amdhsa_system_sgpr_workgroup_info 0
		.amdhsa_system_vgpr_workitem_id 0
		.amdhsa_next_free_vgpr 14
		.amdhsa_next_free_sgpr 17
		.amdhsa_accum_offset 16
		.amdhsa_reserve_vcc 1
		.amdhsa_reserve_flat_scratch 0
		.amdhsa_float_round_mode_32 0
		.amdhsa_float_round_mode_16_64 0
		.amdhsa_float_denorm_mode_32 3
		.amdhsa_float_denorm_mode_16_64 3
		.amdhsa_dx10_clamp 1
		.amdhsa_ieee_mode 1
		.amdhsa_fp16_overflow 0
		.amdhsa_tg_split 0
		.amdhsa_exception_fp_ieee_invalid_op 0
		.amdhsa_exception_fp_denorm_src 0
		.amdhsa_exception_fp_ieee_div_zero 0
		.amdhsa_exception_fp_ieee_overflow 0
		.amdhsa_exception_fp_ieee_underflow 0
		.amdhsa_exception_fp_ieee_inexact 0
		.amdhsa_exception_int_div_zero 0
	.end_amdhsa_kernel
	.section	.text._ZN9rocsolver6v33100L11swap_kernelI19rocblas_complex_numIfEiEEvT0_PT_S4_S6_S4_,"axG",@progbits,_ZN9rocsolver6v33100L11swap_kernelI19rocblas_complex_numIfEiEEvT0_PT_S4_S6_S4_,comdat
.Lfunc_end57:
	.size	_ZN9rocsolver6v33100L11swap_kernelI19rocblas_complex_numIfEiEEvT0_PT_S4_S6_S4_, .Lfunc_end57-_ZN9rocsolver6v33100L11swap_kernelI19rocblas_complex_numIfEiEEvT0_PT_S4_S6_S4_
                                        ; -- End function
	.section	.AMDGPU.csdata,"",@progbits
; Kernel info:
; codeLenInByte = 460
; NumSgprs: 21
; NumVgprs: 14
; NumAgprs: 0
; TotalNumVgprs: 14
; ScratchSize: 0
; MemoryBound: 0
; FloatMode: 240
; IeeeMode: 1
; LDSByteSize: 0 bytes/workgroup (compile time only)
; SGPRBlocks: 2
; VGPRBlocks: 1
; NumSGPRsForWavesPerEU: 21
; NumVGPRsForWavesPerEU: 14
; AccumOffset: 16
; Occupancy: 8
; WaveLimiterHint : 0
; COMPUTE_PGM_RSRC2:SCRATCH_EN: 0
; COMPUTE_PGM_RSRC2:USER_SGPR: 6
; COMPUTE_PGM_RSRC2:TRAP_HANDLER: 0
; COMPUTE_PGM_RSRC2:TGID_X_EN: 1
; COMPUTE_PGM_RSRC2:TGID_Y_EN: 0
; COMPUTE_PGM_RSRC2:TGID_Z_EN: 0
; COMPUTE_PGM_RSRC2:TIDIG_COMP_CNT: 0
; COMPUTE_PGM_RSRC3_GFX90A:ACCUM_OFFSET: 3
; COMPUTE_PGM_RSRC3_GFX90A:TG_SPLIT: 0
	.section	.text._ZN9rocsolver6v33100L12steqr_kernelI19rocblas_complex_numIfEfPS3_EEviPT0_lS6_lT1_iilPiS6_iS5_S5_S5_,"axG",@progbits,_ZN9rocsolver6v33100L12steqr_kernelI19rocblas_complex_numIfEfPS3_EEviPT0_lS6_lT1_iilPiS6_iS5_S5_S5_,comdat
	.globl	_ZN9rocsolver6v33100L12steqr_kernelI19rocblas_complex_numIfEfPS3_EEviPT0_lS6_lT1_iilPiS6_iS5_S5_S5_ ; -- Begin function _ZN9rocsolver6v33100L12steqr_kernelI19rocblas_complex_numIfEfPS3_EEviPT0_lS6_lT1_iilPiS6_iS5_S5_S5_
	.p2align	8
	.type	_ZN9rocsolver6v33100L12steqr_kernelI19rocblas_complex_numIfEfPS3_EEviPT0_lS6_lT1_iilPiS6_iS5_S5_S5_,@function
_ZN9rocsolver6v33100L12steqr_kernelI19rocblas_complex_numIfEfPS3_EEviPT0_lS6_lT1_iilPiS6_iS5_S5_S5_: ; @_ZN9rocsolver6v33100L12steqr_kernelI19rocblas_complex_numIfEfPS3_EEviPT0_lS6_lT1_iilPiS6_iS5_S5_S5_
; %bb.0:
	s_load_dword s0, s[4:5], 0x6c
	s_load_dword s8, s[4:5], 0x60
	s_mov_b32 s38, s7
	s_waitcnt lgkmcnt(0)
	s_and_b32 s9, s0, 0xffff
	s_mul_i32 s6, s6, s9
	v_add_u32_e32 v0, s6, v0
	v_cmp_eq_u32_e64 s[0:1], 0, v0
	s_and_saveexec_b64 s[2:3], s[0:1]
	s_cbranch_execz .LBB58_2
; %bb.1:
	v_mov_b32_e32 v1, 0
	ds_write2_b32 v1, v1, v1 offset0:3 offset1:7
.LBB58_2:
	s_or_b64 exec, exec, s[2:3]
	s_load_dword s10, s[4:5], 0x0
	s_load_dwordx8 s[20:27], s[4:5], 0x8
	s_load_dwordx8 s[12:19], s[4:5], 0x28
	s_load_dwordx2 s[6:7], s[4:5], 0x48
	s_load_dwordx4 s[28:31], s[4:5], 0x50
	s_ashr_i32 s39, s38, 31
	s_waitcnt lgkmcnt(0)
	s_mul_i32 s2, s38, s23
	s_mul_hi_u32 s3, s38, s22
	s_add_i32 s2, s3, s2
	s_mul_i32 s3, s39, s22
	s_add_i32 s3, s2, s3
	s_mul_i32 s2, s38, s22
	v_mov_b32_e32 v38, 0
	s_lshl_b64 s[36:37], s[2:3], 2
	s_barrier
	ds_read2_b32 v[2:3], v38 offset0:3 offset1:7
	s_add_u32 s22, s20, s36
	s_mul_i32 s2, s38, s27
	s_mul_hi_u32 s3, s38, s26
	s_addc_u32 s23, s21, s37
	s_add_i32 s2, s3, s2
	s_mul_i32 s3, s39, s26
	s_add_i32 s43, s2, s3
	s_mul_i32 s2, s38, s17
	s_mul_hi_u32 s3, s38, s16
	s_add_i32 s2, s3, s2
	s_mul_i32 s3, s39, s16
	s_add_i32 s17, s2, s3
	s_waitcnt lgkmcnt(0)
	v_cmp_gt_i32_e32 vcc, s10, v2
	v_cmp_gt_i32_e64 s[2:3], s28, v3
	s_and_b64 s[2:3], vcc, s[2:3]
	s_mul_i32 s34, s8, s9
	s_mul_i32 s42, s38, s26
	s_ashr_i32 s27, s14, 31
	s_mov_b32 s26, s14
	s_mul_i32 s16, s38, s16
	v_readfirstlane_b32 s8, v2
	s_andn2_b64 vcc, exec, s[2:3]
	s_add_i32 s40, s10, -1
	s_cbranch_vccnz .LBB58_224
; %bb.3:
	s_lshl_b32 s9, s10, 1
	s_lshl_b64 s[2:3], s[42:43], 2
	s_add_u32 s14, s24, s2
	s_addc_u32 s33, s25, s3
	s_lshl_b64 s[2:3], s[16:17], 3
	s_lshl_b64 s[4:5], s[26:27], 3
	s_add_u32 s2, s2, s4
	s_addc_u32 s3, s3, s5
	s_add_u32 s90, s12, s2
	s_addc_u32 s91, s13, s3
	s_mul_hi_i32 s3, s9, s38
	s_mul_i32 s2, s9, s38
	s_lshl_b64 s[4:5], s[2:3], 2
	s_add_u32 s92, s6, s4
	s_addc_u32 s93, s7, s5
	s_ashr_i32 s11, s10, 31
	s_ashr_i32 s45, s15, 31
	s_add_u32 s46, s14, -4
	s_addc_u32 s47, s33, -1
	s_add_u32 s48, s92, -4
	s_addc_u32 s49, s93, -1
	s_add_u32 s94, s20, s36
	s_addc_u32 s95, s21, s37
	s_ashr_i32 s35, s34, 31
	s_lshl_b64 s[50:51], s[34:35], 2
	s_lshl_b64 s[52:53], s[10:11], 2
	s_add_u32 s4, s4, s52
	s_addc_u32 s5, s5, s53
	s_add_u32 s4, s4, s6
	s_addc_u32 s5, s5, s7
	s_add_u32 s4, s4, -8
	s_addc_u32 s5, s5, -1
	s_mov_b32 s44, s15
	s_add_u32 s11, s52, -4
	s_addc_u32 s62, s53, -1
	s_lshl_b64 s[56:57], s[44:45], 3
	s_lshl_b64 s[58:59], s[34:35], 3
	v_ashrrev_i32_e32 v1, 31, v0
	s_sub_u32 s35, 0, s56
	v_lshlrev_b64 v[2:3], 3, v[0:1]
	s_subb_u32 s63, 0, s57
                                        ; implicit-def: $vgpr62 : SGPR spill to VGPR lane
	v_mov_b32_e32 v4, s91
	v_add_co_u32_e32 v1, vcc, s90, v2
	s_add_u32 s64, s94, -4
	s_mov_b32 s82, 0x667f3bcd
	s_mov_b32 s84, 0.5
	v_mul_f32_e64 v39, s29, s29
	v_cmp_gt_i32_e64 s[2:3], s10, v0
	v_writelane_b32 v62, s4, 0
	v_addc_co_u32_e32 v40, vcc, v4, v3, vcc
	s_addc_u32 s65, s95, -1
	s_mov_b32 s61, 0
	s_mov_b32 s54, 0xf800000
	;; [unrolled: 1-line block ×3, first 2 shown]
	v_mov_b32_e32 v41, 0x260
	s_mov_b32 s83, 0x3ff6a09e
	s_mov_b32 s85, -0.5
	v_writelane_b32 v62, s5, 1
                                        ; implicit-def: $vgpr6_vgpr7
                                        ; implicit-def: $vgpr8_vgpr9
                                        ; implicit-def: $vgpr10_vgpr11
                                        ; implicit-def: $vgpr2_vgpr3
                                        ; implicit-def: $vgpr42
                                        ; implicit-def: $vgpr4_vgpr5
                                        ; implicit-def: $vgpr43
                                        ; implicit-def: $vgpr12_vgpr13
                                        ; implicit-def: $vgpr14_vgpr15
	s_branch .LBB58_7
.LBB58_4:                               ;   in Loop: Header=BB58_7 Depth=1
	s_or_b64 exec, exec, s[4:5]
.LBB58_5:                               ;   in Loop: Header=BB58_7 Depth=1
	s_barrier
.LBB58_6:                               ;   in Loop: Header=BB58_7 Depth=1
	ds_read2_b32 v[12:13], v38 offset0:3 offset1:7
	v_mov_b32_e32 v43, v44
	v_pk_mov_b32 v[14:15], v[22:23], v[22:23] op_sel:[0,1]
	s_waitcnt lgkmcnt(0)
	v_cmp_gt_i32_e32 vcc, s10, v12
	v_cmp_gt_i32_e64 s[4:5], s28, v13
	s_and_b64 s[4:5], vcc, s[4:5]
	v_readfirstlane_b32 s8, v12
	s_andn2_b64 vcc, exec, s[4:5]
	v_pk_mov_b32 v[12:13], v[20:21], v[20:21] op_sel:[0,1]
	s_cbranch_vccnz .LBB58_224
.LBB58_7:                               ; =>This Loop Header: Depth=1
                                        ;     Child Loop BB58_15 Depth 2
                                        ;     Child Loop BB58_28 Depth 2
	;; [unrolled: 1-line block ×5, first 2 shown]
                                        ;       Child Loop BB58_61 Depth 3
                                        ;       Child Loop BB58_80 Depth 3
	;; [unrolled: 1-line block ×3, first 2 shown]
                                        ;         Child Loop BB58_127 Depth 4
                                        ;     Child Loop BB58_148 Depth 2
                                        ;       Child Loop BB58_156 Depth 3
                                        ;       Child Loop BB58_175 Depth 3
                                        ;       Child Loop BB58_221 Depth 3
                                        ;         Child Loop BB58_222 Depth 4
                                        ;     Child Loop BB58_138 Depth 2
                                        ;     Child Loop BB58_145 Depth 2
	s_and_saveexec_b64 s[66:67], s[0:1]
	s_cbranch_execz .LBB58_31
; %bb.8:                                ;   in Loop: Header=BB58_7 Depth=1
	s_cmp_lt_i32 s8, 1
	s_cbranch_scc1 .LBB58_10
; %bb.9:                                ;   in Loop: Header=BB58_7 Depth=1
	s_mov_b32 s9, s61
	s_lshl_b64 s[4:5], s[8:9], 2
	s_add_u32 s4, s46, s4
	s_addc_u32 s5, s47, s5
	global_store_dword v38, v38, s[4:5]
.LBB58_10:                              ;   in Loop: Header=BB58_7 Depth=1
	s_mov_b64 s[6:7], -1
	s_mov_b64 s[4:5], 0
	s_cmp_lt_i32 s8, s40
	s_mov_b64 s[68:69], 0
	s_cbranch_scc1 .LBB58_12
; %bb.11:                               ;   in Loop: Header=BB58_7 Depth=1
	s_ashr_i32 s9, s8, 31
	s_mov_b64 s[6:7], 0
	s_mov_b64 s[68:69], -1
.LBB58_12:                              ;   in Loop: Header=BB58_7 Depth=1
	s_andn2_b64 vcc, exec, s[6:7]
	s_cbranch_vccnz .LBB58_17
; %bb.13:                               ;   in Loop: Header=BB58_7 Depth=1
	s_ashr_i32 s9, s8, 31
	s_lshl_b64 s[4:5], s[8:9], 2
	s_add_u32 s76, s14, s4
	s_addc_u32 s77, s33, s5
	s_add_u32 s74, s94, s4
	s_addc_u32 s75, s95, s5
	s_mov_b64 s[78:79], s[8:9]
	s_branch .LBB58_15
.LBB58_14:                              ;   in Loop: Header=BB58_15 Depth=2
	s_andn2_b64 vcc, exec, s[4:5]
	s_cbranch_vccz .LBB58_18
.LBB58_15:                              ;   Parent Loop BB58_7 Depth=1
                                        ; =>  This Inner Loop Header: Depth=2
	global_load_dwordx2 v[6:7], v38, s[74:75]
	global_load_dword v8, v38, s[76:77]
	s_mov_b64 s[70:71], s[76:77]
	s_mov_b64 s[72:73], s[78:79]
	s_mov_b64 s[80:81], -1
                                        ; implicit-def: $sgpr78_sgpr79
                                        ; implicit-def: $sgpr76_sgpr77
	s_waitcnt vmcnt(1)
	v_mul_f32_e64 v9, |v7|, s55
	v_cmp_lt_f32_e64 vcc, |v7|, s54
	v_mul_f32_e64 v10, |v6|, s55
	v_cndmask_b32_e64 v7, |v7|, v9, vcc
	v_cmp_lt_f32_e64 s[4:5], |v6|, s54
	v_sqrt_f32_e32 v9, v7
	v_cndmask_b32_e64 v6, |v6|, v10, s[4:5]
	v_sqrt_f32_e32 v10, v6
	v_add_u32_e32 v11, -1, v9
	v_fma_f32 v19, -v11, v9, v7
	v_add_u32_e32 v17, -1, v10
	v_add_u32_e32 v16, 1, v9
	v_fma_f32 v21, -v17, v10, v6
	v_cmp_ge_f32_e64 s[6:7], 0, v19
	v_add_u32_e32 v18, 1, v10
	v_fma_f32 v20, -v16, v9, v7
	v_cndmask_b32_e64 v9, v9, v11, s[6:7]
	v_cmp_ge_f32_e64 s[6:7], 0, v21
	v_fma_f32 v22, -v18, v10, v6
	v_cndmask_b32_e64 v10, v10, v17, s[6:7]
	v_cmp_lt_f32_e64 s[6:7], 0, v20
	v_cndmask_b32_e64 v9, v9, v16, s[6:7]
	v_cmp_lt_f32_e64 s[6:7], 0, v22
	v_cndmask_b32_e64 v10, v10, v18, s[6:7]
	v_mul_f32_e32 v11, 0x37800000, v9
	v_mul_f32_e32 v16, 0x37800000, v10
	v_cndmask_b32_e32 v9, v9, v11, vcc
	v_cmp_class_f32_e32 vcc, v7, v41
	v_cndmask_b32_e64 v10, v10, v16, s[4:5]
	v_cndmask_b32_e32 v7, v9, v7, vcc
	v_cmp_class_f32_e32 vcc, v6, v41
	v_cndmask_b32_e32 v6, v10, v6, vcc
	v_mul_f32_e32 v6, v6, v7
	v_mul_f32_e32 v6, s29, v6
	s_waitcnt vmcnt(0)
	v_cmp_nle_f32_e64 s[4:5], |v8|, v6
	s_and_b64 vcc, exec, s[4:5]
	s_mov_b64 s[4:5], -1
	s_cbranch_vccz .LBB58_14
; %bb.16:                               ;   in Loop: Header=BB58_15 Depth=2
	s_add_u32 s78, s72, 1
	s_addc_u32 s79, s73, 0
	s_add_u32 s76, s70, 4
	s_addc_u32 s77, s71, 0
	s_add_u32 s74, s74, 4
	s_addc_u32 s75, s75, 0
	s_cmp_ge_i32 s78, s40
	s_mov_b64 s[80:81], 0
	s_cselect_b64 s[4:5], -1, 0
	s_branch .LBB58_14
.LBB58_17:                              ;   in Loop: Header=BB58_7 Depth=1
	s_mov_b32 s41, s8
	s_mov_b64 s[6:7], s[8:9]
	s_and_b64 vcc, exec, s[68:69]
	s_cbranch_vccnz .LBB58_21
	s_branch .LBB58_22
.LBB58_18:                              ;   in Loop: Header=BB58_7 Depth=1
	s_xor_b64 s[6:7], s[80:81], -1
	s_mov_b64 s[4:5], -1
	s_and_b64 vcc, exec, s[6:7]
                                        ; implicit-def: $sgpr6_sgpr7
	s_cbranch_vccz .LBB58_20
; %bb.19:                               ;   in Loop: Header=BB58_7 Depth=1
	s_ashr_i32 s41, s40, 31
	s_mov_b64 s[68:69], -1
	s_mov_b64 s[4:5], 0
	s_mov_b64 s[6:7], s[40:41]
.LBB58_20:                              ;   in Loop: Header=BB58_7 Depth=1
	v_pk_mov_b32 v[6:7], s[72:73], s[72:73] op_sel:[0,1]
	v_pk_mov_b32 v[8:9], s[70:71], s[70:71] op_sel:[0,1]
	v_pk_mov_b32 v[10:11], s[8:9], s[8:9] op_sel:[0,1]
	s_mov_b32 s41, s40
	s_and_b64 vcc, exec, s[68:69]
	s_cbranch_vccz .LBB58_22
.LBB58_21:                              ;   in Loop: Header=BB58_7 Depth=1
	v_mov_b32_e32 v16, s41
	ds_write_b32 v38, v16 offset:4
.LBB58_22:                              ;   in Loop: Header=BB58_7 Depth=1
	s_andn2_b64 vcc, exec, s[4:5]
	v_pk_mov_b32 v[16:17], s[8:9], s[8:9] op_sel:[0,1]
	v_pk_mov_b32 v[18:19], s[6:7], s[6:7] op_sel:[0,1]
	v_mov_b32_e32 v20, s41
	s_cbranch_vccnz .LBB58_24
; %bb.23:                               ;   in Loop: Header=BB58_7 Depth=1
	v_pk_mov_b32 v[16:17], v[10:11], v[10:11] op_sel:[0,1]
	v_pk_mov_b32 v[18:19], v[6:7], v[6:7] op_sel:[0,1]
	v_mov_b32_e32 v20, v6
	ds_write_b32 v38, v6 offset:4
	global_store_dword v[8:9], v38, off
.LBB58_24:                              ;   in Loop: Header=BB58_7 Depth=1
	v_lshlrev_b64 v[18:19], 2, v[18:19]
	v_mov_b32_e32 v21, s23
	v_add_co_u32_e32 v22, vcc, s22, v18
	v_addc_co_u32_e32 v23, vcc, v21, v19, vcc
	v_lshlrev_b64 v[18:19], 2, v[16:17]
	v_mov_b32_e32 v16, s23
	v_add_co_u32_e32 v24, vcc, s22, v18
	v_addc_co_u32_e32 v25, vcc, v16, v19, vcc
	global_load_dword v16, v[22:23], off
	global_load_dword v17, v[24:25], off
	v_mov_b32_e32 v21, s8
	ds_write2_b32 v38, v21, v20 offset1:5
	ds_write_b32 v38, v20 offset:32
	v_add_u32_e32 v21, 1, v20
	v_mov_b32_e32 v22, s8
	ds_write2_b32 v38, v21, v22 offset0:3 offset1:4
	s_waitcnt vmcnt(0)
	v_cmp_lt_f32_e64 s[6:7], |v16|, |v17|
	s_and_saveexec_b64 s[4:5], s[6:7]
	s_cbranch_execz .LBB58_26
; %bb.25:                               ;   in Loop: Header=BB58_7 Depth=1
	v_mov_b32_e32 v17, s8
	ds_write2_b32 v38, v20, v17 offset1:5
.LBB58_26:                              ;   in Loop: Header=BB58_7 Depth=1
	s_or_b64 exec, exec, s[4:5]
	v_and_b32_e32 v21, 0x7fffffff, v16
	v_cmp_lt_i32_e32 vcc, s8, v20
	s_and_saveexec_b64 s[4:5], vcc
	s_cbranch_execz .LBB58_30
; %bb.27:                               ;   in Loop: Header=BB58_7 Depth=1
	v_mov_b32_e32 v17, s95
	v_add_co_u32_e32 v16, vcc, s94, v18
	v_addc_co_u32_e32 v17, vcc, v17, v19, vcc
	v_mov_b32_e32 v22, s33
	v_add_co_u32_e32 v18, vcc, s14, v18
	v_addc_co_u32_e32 v19, vcc, v22, v19, vcc
	s_mov_b64 s[6:7], 0
.LBB58_28:                              ;   Parent Loop BB58_7 Depth=1
                                        ; =>  This Inner Loop Header: Depth=2
	global_load_dword v22, v[16:17], off
	global_load_dword v23, v[18:19], off
	v_add_co_u32_e32 v16, vcc, 4, v16
	v_addc_co_u32_e32 v17, vcc, 0, v17, vcc
	v_add_co_u32_e32 v18, vcc, 4, v18
	s_add_i32 s8, s8, 1
	v_addc_co_u32_e32 v19, vcc, 0, v19, vcc
	v_cmp_ge_i32_e32 vcc, s8, v20
	s_or_b64 s[6:7], vcc, s[6:7]
	s_waitcnt vmcnt(0)
	v_max3_f32 v21, v21, |v22|, |v23|
	s_andn2_b64 exec, exec, s[6:7]
	s_cbranch_execnz .LBB58_28
; %bb.29:                               ;   in Loop: Header=BB58_7 Depth=1
	s_or_b64 exec, exec, s[6:7]
.LBB58_30:                              ;   in Loop: Header=BB58_7 Depth=1
	s_or_b64 exec, exec, s[4:5]
	ds_write_b32 v38, v21 offset:24
.LBB58_31:                              ;   in Loop: Header=BB58_7 Depth=1
	s_or_b64 exec, exec, s[66:67]
	s_waitcnt lgkmcnt(0)
	s_barrier
	ds_read2_b32 v[16:17], v38 offset0:5 offset1:6
	ds_read_b32 v18, v38
	s_waitcnt lgkmcnt(1)
	v_readfirstlane_b32 s4, v16
	s_waitcnt lgkmcnt(0)
	v_readfirstlane_b32 s5, v18
	v_readfirstlane_b32 s8, v17
	s_cmp_eq_u32 s4, s5
	s_cselect_b64 s[4:5], -1, 0
	v_cmp_eq_f32_e64 s[6:7], s8, 0
	s_or_b64 s[4:5], s[4:5], s[6:7]
	s_and_b64 vcc, exec, s[4:5]
	s_cbranch_vccnz .LBB58_129
; %bb.32:                               ;   in Loop: Header=BB58_7 Depth=1
	v_mov_b32_e32 v16, s31
	v_cmp_ngt_f32_e32 vcc, s8, v16
	s_mov_b64 s[4:5], -1
	s_cbranch_vccz .LBB58_41
; %bb.33:                               ;   in Loop: Header=BB58_7 Depth=1
	v_mov_b32_e32 v16, s30
	v_cmp_nlt_f32_e32 vcc, s8, v16
	s_cbranch_vccnz .LBB58_40
; %bb.34:                               ;   in Loop: Header=BB58_7 Depth=1
	v_mov_b32_e32 v18, s8
	v_div_scale_f32 v19, s[4:5], s30, s30, v18
	v_rcp_f32_e32 v20, v19
	v_mov_b32_e32 v21, s30
	v_div_scale_f32 v21, vcc, s8, v21, s8
	v_fma_f32 v22, -v19, v20, 1.0
	v_fmac_f32_e32 v20, v22, v20
	v_mul_f32_e32 v22, v21, v20
	ds_read2_b32 v[16:17], v38 offset0:4 offset1:8
	v_fma_f32 v23, -v19, v22, v21
	v_fmac_f32_e32 v22, v23, v20
	v_fma_f32 v19, -v19, v22, v21
	v_div_fmas_f32 v19, v19, v20, v22
	v_div_fixup_f32 v22, v19, s30, v18
	s_and_saveexec_b64 s[4:5], s[0:1]
	s_cbranch_execz .LBB58_36
; %bb.35:                               ;   in Loop: Header=BB58_7 Depth=1
	s_waitcnt lgkmcnt(0)
	v_ashrrev_i32_e32 v19, 31, v17
	v_mov_b32_e32 v18, v17
	v_lshlrev_b64 v[18:19], 2, v[18:19]
	v_mov_b32_e32 v20, s23
	v_add_co_u32_e32 v18, vcc, s22, v18
	v_addc_co_u32_e32 v19, vcc, v20, v19, vcc
	global_load_dword v20, v[18:19], off
	s_waitcnt vmcnt(0)
	v_mul_f32_e32 v20, v22, v20
	global_store_dword v[18:19], v20, off
.LBB58_36:                              ;   in Loop: Header=BB58_7 Depth=1
	s_or_b64 exec, exec, s[4:5]
	s_waitcnt lgkmcnt(0)
	v_add_u32_e32 v18, v16, v0
	v_cmp_lt_i32_e32 vcc, v18, v17
	s_and_saveexec_b64 s[4:5], vcc
	s_cbranch_execz .LBB58_39
; %bb.37:                               ;   in Loop: Header=BB58_7 Depth=1
	v_ashrrev_i32_e32 v19, 31, v18
	v_lshlrev_b64 v[20:21], 2, v[18:19]
	s_mov_b64 s[6:7], 0
.LBB58_38:                              ;   Parent Loop BB58_7 Depth=1
                                        ; =>  This Inner Loop Header: Depth=2
	v_mov_b32_e32 v16, s23
	v_add_co_u32_e32 v24, vcc, s22, v20
	v_addc_co_u32_e32 v25, vcc, v16, v21, vcc
	global_load_dword v16, v[24:25], off
	v_mov_b32_e32 v19, s33
	v_add_co_u32_e32 v26, vcc, s14, v20
	v_addc_co_u32_e32 v27, vcc, v19, v21, vcc
	v_mov_b32_e32 v19, s51
	v_add_co_u32_e32 v20, vcc, s50, v20
	v_add_u32_e32 v18, s34, v18
	v_addc_co_u32_e32 v21, vcc, v21, v19, vcc
	v_cmp_ge_i32_e32 vcc, v18, v17
	s_or_b64 s[6:7], vcc, s[6:7]
	s_waitcnt vmcnt(0)
	v_mul_f32_e32 v16, v22, v16
	global_store_dword v[24:25], v16, off
	global_load_dword v16, v[26:27], off
	s_waitcnt vmcnt(0)
	v_mul_f32_e32 v16, v22, v16
	global_store_dword v[26:27], v16, off
	s_andn2_b64 exec, exec, s[6:7]
	s_cbranch_execnz .LBB58_38
.LBB58_39:                              ;   in Loop: Header=BB58_7 Depth=1
	s_or_b64 exec, exec, s[4:5]
.LBB58_40:                              ;   in Loop: Header=BB58_7 Depth=1
	s_mov_b64 s[4:5], 0
.LBB58_41:                              ;   in Loop: Header=BB58_7 Depth=1
	s_andn2_b64 vcc, exec, s[4:5]
	s_cbranch_vccnz .LBB58_48
; %bb.42:                               ;   in Loop: Header=BB58_7 Depth=1
	v_mov_b32_e32 v18, s8
	v_div_scale_f32 v19, s[4:5], s31, s31, v18
	v_rcp_f32_e32 v20, v19
	v_mov_b32_e32 v21, s31
	v_div_scale_f32 v21, vcc, s8, v21, s8
	v_fma_f32 v22, -v19, v20, 1.0
	v_fmac_f32_e32 v20, v22, v20
	v_mul_f32_e32 v22, v21, v20
	ds_read2_b32 v[16:17], v38 offset0:4 offset1:8
	v_fma_f32 v23, -v19, v22, v21
	v_fmac_f32_e32 v22, v23, v20
	v_fma_f32 v19, -v19, v22, v21
	v_div_fmas_f32 v19, v19, v20, v22
	v_div_fixup_f32 v22, v19, s31, v18
	s_and_saveexec_b64 s[4:5], s[0:1]
	s_cbranch_execz .LBB58_44
; %bb.43:                               ;   in Loop: Header=BB58_7 Depth=1
	s_waitcnt lgkmcnt(0)
	v_ashrrev_i32_e32 v19, 31, v17
	v_mov_b32_e32 v18, v17
	v_lshlrev_b64 v[18:19], 2, v[18:19]
	v_mov_b32_e32 v20, s23
	v_add_co_u32_e32 v18, vcc, s22, v18
	v_addc_co_u32_e32 v19, vcc, v20, v19, vcc
	global_load_dword v20, v[18:19], off
	s_waitcnt vmcnt(0)
	v_mul_f32_e32 v20, v22, v20
	global_store_dword v[18:19], v20, off
.LBB58_44:                              ;   in Loop: Header=BB58_7 Depth=1
	s_or_b64 exec, exec, s[4:5]
	s_waitcnt lgkmcnt(0)
	v_add_u32_e32 v18, v16, v0
	v_cmp_lt_i32_e32 vcc, v18, v17
	s_and_saveexec_b64 s[4:5], vcc
	s_cbranch_execz .LBB58_47
; %bb.45:                               ;   in Loop: Header=BB58_7 Depth=1
	v_ashrrev_i32_e32 v19, 31, v18
	v_lshlrev_b64 v[20:21], 2, v[18:19]
	s_mov_b64 s[6:7], 0
.LBB58_46:                              ;   Parent Loop BB58_7 Depth=1
                                        ; =>  This Inner Loop Header: Depth=2
	v_mov_b32_e32 v16, s23
	v_add_co_u32_e32 v24, vcc, s22, v20
	v_addc_co_u32_e32 v25, vcc, v16, v21, vcc
	global_load_dword v16, v[24:25], off
	v_mov_b32_e32 v19, s33
	v_add_co_u32_e32 v26, vcc, s14, v20
	v_addc_co_u32_e32 v27, vcc, v19, v21, vcc
	v_mov_b32_e32 v19, s51
	v_add_co_u32_e32 v20, vcc, s50, v20
	v_add_u32_e32 v18, s34, v18
	v_addc_co_u32_e32 v21, vcc, v21, v19, vcc
	v_cmp_ge_i32_e32 vcc, v18, v17
	s_or_b64 s[6:7], vcc, s[6:7]
	s_waitcnt vmcnt(0)
	v_mul_f32_e32 v16, v22, v16
	global_store_dword v[24:25], v16, off
	global_load_dword v16, v[26:27], off
	s_waitcnt vmcnt(0)
	v_mul_f32_e32 v16, v22, v16
	global_store_dword v[26:27], v16, off
	s_andn2_b64 exec, exec, s[6:7]
	s_cbranch_execnz .LBB58_46
.LBB58_47:                              ;   in Loop: Header=BB58_7 Depth=1
	s_or_b64 exec, exec, s[4:5]
.LBB58_48:                              ;   in Loop: Header=BB58_7 Depth=1
	s_barrier
	ds_read2_b32 v[16:17], v38 offset1:5
	ds_read_b32 v19, v38 offset:28
	s_waitcnt lgkmcnt(1)
	v_mov_b32_e32 v18, v17
	s_waitcnt lgkmcnt(0)
	v_cmp_gt_i32_e64 s[4:5], s28, v19
	v_cmp_lt_i32_e32 vcc, v17, v16
	v_cndmask_b32_e64 v17, 0, 1, s[4:5]
	v_cmp_ne_u32_e64 s[4:5], 1, v17
	s_cbranch_vccnz .LBB58_130
; %bb.49:                               ;   in Loop: Header=BB58_7 Depth=1
	s_and_b64 vcc, exec, s[4:5]
	v_pk_mov_b32 v[22:23], v[14:15], v[14:15] op_sel:[0,1]
	v_pk_mov_b32 v[20:21], v[12:13], v[12:13] op_sel:[0,1]
	v_mov_b32_e32 v44, v43
	v_mov_b32_e32 v33, v19
	;; [unrolled: 1-line block ×4, first 2 shown]
	s_cbranch_vccz .LBB58_53
.LBB58_50:                              ;   in Loop: Header=BB58_7 Depth=1
	s_cbranch_execz .LBB58_131
	s_branch .LBB58_133
.LBB58_51:                              ;   in Loop: Header=BB58_53 Depth=2
	s_or_b64 exec, exec, s[8:9]
	s_barrier
	ds_read_b32 v24, v38
.LBB58_52:                              ;   in Loop: Header=BB58_53 Depth=2
	ds_read2_b32 v[32:33], v38 offset0:5 offset1:7
	s_waitcnt lgkmcnt(0)
	v_cmp_le_i32_e32 vcc, v24, v32
	v_cmp_gt_i32_e64 s[6:7], s28, v33
	s_and_b64 s[6:7], vcc, s[6:7]
	s_andn2_b64 vcc, exec, s[6:7]
	s_cbranch_vccnz .LBB58_50
.LBB58_53:                              ;   Parent Loop BB58_7 Depth=1
                                        ; =>  This Loop Header: Depth=2
                                        ;       Child Loop BB58_61 Depth 3
                                        ;       Child Loop BB58_80 Depth 3
	;; [unrolled: 1-line block ×3, first 2 shown]
                                        ;         Child Loop BB58_127 Depth 4
	s_and_saveexec_b64 s[66:67], s[0:1]
	s_cbranch_execz .LBB58_122
; %bb.54:                               ;   in Loop: Header=BB58_53 Depth=2
	v_cmp_lt_i32_e32 vcc, v24, v32
	s_mov_b64 s[6:7], 0
	s_cbranch_vccnz .LBB58_58
; %bb.55:                               ;   in Loop: Header=BB58_53 Depth=2
	v_ashrrev_i32_e32 v25, 31, v24
	s_mov_b64 s[8:9], -1
	v_pk_mov_b32 v[26:27], v[24:25], v[24:25] op_sel:[0,1]
	v_mov_b32_e32 v28, v24
	s_cbranch_execz .LBB58_59
; %bb.56:                               ;   in Loop: Header=BB58_53 Depth=2
	s_and_b64 vcc, exec, s[8:9]
	s_cbranch_vccz .LBB58_64
.LBB58_57:                              ;   in Loop: Header=BB58_53 Depth=2
	ds_write2_b32 v38, v28, v24 offset0:1 offset1:4
	s_cbranch_execz .LBB58_65
	s_branch .LBB58_66
.LBB58_58:                              ;   in Loop: Header=BB58_53 Depth=2
                                        ; implicit-def: $vgpr26_vgpr27
	s_mov_b64 s[8:9], 0
	v_mov_b32_e32 v28, v24
.LBB58_59:                              ;   in Loop: Header=BB58_53 Depth=2
	v_ashrrev_i32_e32 v25, 31, v24
	v_lshlrev_b64 v[20:21], 2, v[24:25]
	v_mov_b32_e32 v17, s33
	v_add_co_u32_e32 v26, vcc, s14, v20
	v_addc_co_u32_e32 v27, vcc, v17, v21, vcc
	v_mov_b32_e32 v17, s95
	v_add_co_u32_e32 v22, vcc, s94, v20
	v_addc_co_u32_e32 v23, vcc, v17, v21, vcc
	v_mov_b32_e32 v17, v24
	s_branch .LBB58_61
.LBB58_60:                              ;   in Loop: Header=BB58_61 Depth=3
	v_add_co_u32_e32 v26, vcc, 4, v20
	v_addc_co_u32_e32 v27, vcc, 0, v21, vcc
	v_add_u32_e32 v17, 1, v44
	v_add_co_u32_e32 v22, vcc, 4, v22
	v_addc_co_u32_e32 v23, vcc, 0, v23, vcc
	s_mov_b64 s[6:7], 0
	v_cmp_ge_i32_e64 s[8:9], v17, v32
	s_andn2_b64 vcc, exec, s[8:9]
	s_cbranch_vccz .LBB58_63
.LBB58_61:                              ;   Parent Loop BB58_7 Depth=1
                                        ;     Parent Loop BB58_53 Depth=2
                                        ; =>    This Inner Loop Header: Depth=3
	v_pk_mov_b32 v[20:21], v[26:27], v[26:27] op_sel:[0,1]
	global_load_dwordx2 v[26:27], v[22:23], off
	global_load_dword v28, v[20:21], off
	v_mov_b32_e32 v44, v17
	s_waitcnt vmcnt(1)
	v_mul_f32_e32 v17, v26, v27
	s_waitcnt vmcnt(0)
	v_mul_f32_e32 v26, v28, v28
	v_mul_f32_e64 v17, v39, |v17|
	v_cmp_le_f32_e64 s[6:7], |v26|, v17
	s_and_b64 vcc, exec, s[6:7]
	s_cbranch_vccz .LBB58_60
; %bb.62:                               ;   in Loop: Header=BB58_53 Depth=2
	s_mov_b64 s[6:7], -1
                                        ; implicit-def: $vgpr17
                                        ; implicit-def: $vgpr26_vgpr27
                                        ; implicit-def: $vgpr22_vgpr23
.LBB58_63:                              ;   in Loop: Header=BB58_53 Depth=2
	s_xor_b64 s[8:9], s[6:7], -1
	s_mov_b64 s[6:7], -1
	v_pk_mov_b32 v[22:23], v[24:25], v[24:25] op_sel:[0,1]
	v_mov_b32_e32 v28, v32
	v_pk_mov_b32 v[26:27], v[24:25], v[24:25] op_sel:[0,1]
	s_and_b64 vcc, exec, s[8:9]
	s_cbranch_vccnz .LBB58_57
.LBB58_64:                              ;   in Loop: Header=BB58_53 Depth=2
                                        ; implicit-def: $vgpr28
                                        ; implicit-def: $vgpr26_vgpr27
	s_andn2_b64 vcc, exec, s[6:7]
	s_cbranch_vccnz .LBB58_66
.LBB58_65:                              ;   in Loop: Header=BB58_53 Depth=2
	v_pk_mov_b32 v[26:27], v[22:23], v[22:23] op_sel:[0,1]
	v_mov_b32_e32 v28, v44
	ds_write2_b32 v38, v44, v24 offset0:1 offset1:4
	global_store_dword v[20:21], v38, off
.LBB58_66:                              ;   in Loop: Header=BB58_53 Depth=2
	v_lshlrev_b64 v[30:31], 2, v[26:27]
	v_mov_b32_e32 v17, s23
	v_add_co_u32_e32 v26, vcc, s22, v30
	v_addc_co_u32_e32 v27, vcc, v17, v31, vcc
	global_load_dword v32, v[26:27], off
	v_cmp_ne_u32_e32 vcc, v28, v24
	v_add_u32_e32 v17, 1, v24
	s_waitcnt vmcnt(0)
	ds_write_b32 v38, v32 offset:8
	s_and_saveexec_b64 s[6:7], vcc
	s_xor_b64 s[68:69], exec, s[6:7]
	s_cbranch_execz .LBB58_119
; %bb.67:                               ;   in Loop: Header=BB58_53 Depth=2
	v_cmp_ne_u32_e32 vcc, v28, v17
	s_and_saveexec_b64 s[6:7], vcc
	s_xor_b64 s[70:71], exec, s[6:7]
	s_cbranch_execz .LBB58_95
; %bb.68:                               ;   in Loop: Header=BB58_53 Depth=2
	v_mov_b32_e32 v25, s33
	v_add_co_u32_e32 v30, vcc, s14, v30
	v_addc_co_u32_e32 v31, vcc, v25, v31, vcc
	global_load_dword v17, v[26:27], off offset:4
	global_load_dword v25, v[30:31], off
	v_ashrrev_i32_e32 v29, 31, v28
	v_lshlrev_b64 v[36:37], 2, v[28:29]
	v_mov_b32_e32 v35, s23
	v_add_co_u32_e32 v34, vcc, s22, v36
	v_addc_co_u32_e32 v35, vcc, v35, v37, vcc
	global_load_dword v45, v[34:35], off
	v_add_u32_e32 v33, 1, v33
	ds_write2_b32 v38, v38, v33 offset0:2 offset1:7
	s_waitcnt vmcnt(2)
	v_sub_f32_e32 v17, v17, v32
	s_waitcnt vmcnt(1)
	v_add_f32_e32 v29, v25, v25
	v_div_scale_f32 v46, s[6:7], v29, v29, v17
	v_rcp_f32_e32 v47, v46
	v_div_scale_f32 v48, vcc, v17, v29, v17
	v_cmp_gt_i32_e64 s[6:7], v28, v24
	v_fma_f32 v49, -v46, v47, 1.0
	v_fmac_f32_e32 v47, v49, v47
	v_mul_f32_e32 v49, v48, v47
	v_fma_f32 v50, -v46, v49, v48
	v_fmac_f32_e32 v49, v50, v47
	v_fma_f32 v46, -v46, v49, v48
	v_div_fmas_f32 v46, v46, v47, v49
	v_div_fixup_f32 v17, v46, v29, v17
	v_fma_f32 v29, v17, v17, 1.0
	v_mul_f32_e32 v46, 0x4f800000, v29
	v_cmp_gt_f32_e32 vcc, s54, v29
	v_cndmask_b32_e32 v29, v29, v46, vcc
	v_sqrt_f32_e32 v46, v29
	v_add_u32_e32 v33, -1, v46
	v_add_u32_e32 v47, 1, v46
	v_fma_f32 v48, -v33, v46, v29
	v_fma_f32 v49, -v47, v46, v29
	v_cmp_ge_f32_e64 s[8:9], 0, v48
	v_cndmask_b32_e64 v33, v46, v33, s[8:9]
	v_cmp_lt_f32_e64 s[8:9], 0, v49
	v_cndmask_b32_e64 v33, v33, v47, s[8:9]
	v_mul_f32_e32 v46, 0x37800000, v33
	v_cndmask_b32_e32 v33, v33, v46, vcc
	v_cmp_class_f32_e32 vcc, v29, v41
	v_cndmask_b32_e32 v29, v33, v29, vcc
	v_cmp_nle_f32_e32 vcc, 0, v17
	v_cndmask_b32_e64 v29, |v29|, -|v29|, vcc
	v_add_f32_e32 v17, v17, v29
	v_div_scale_f32 v29, s[8:9], v17, v17, v25
	v_rcp_f32_e32 v33, v29
	v_div_scale_f32 v47, vcc, v25, v17, v25
	s_waitcnt vmcnt(0)
	v_sub_f32_e32 v46, v45, v32
	v_fma_f32 v48, -v29, v33, 1.0
	v_fmac_f32_e32 v33, v48, v33
	v_mul_f32_e32 v48, v47, v33
	v_fma_f32 v49, -v29, v48, v47
	v_fmac_f32_e32 v48, v49, v33
	v_fma_f32 v29, -v29, v48, v47
	v_div_fmas_f32 v29, v29, v33, v48
	v_div_fixup_f32 v17, v29, v17, v25
	v_add_f32_e32 v17, v46, v17
	v_mov_b32_e32 v25, 0
	s_and_saveexec_b64 s[8:9], s[6:7]
	s_cbranch_execz .LBB58_94
; %bb.69:                               ;   in Loop: Header=BB58_53 Depth=2
	v_mov_b32_e32 v25, s47
	v_add_co_u32_e32 v32, vcc, s46, v36
	v_addc_co_u32_e32 v33, vcc, v25, v37, vcc
	global_load_dword v33, v[32:33], off
	v_mov_b32_e32 v29, 1.0
	v_mov_b32_e32 v46, 0
	s_waitcnt vmcnt(0)
	v_cmp_neq_f32_e32 vcc, 0, v33
	s_and_saveexec_b64 s[72:73], vcc
	s_cbranch_execz .LBB58_77
; %bb.70:                               ;   in Loop: Header=BB58_53 Depth=2
	v_cmp_neq_f32_e32 vcc, 0, v17
	v_mov_b32_e32 v46, 1.0
	v_mov_b32_e32 v29, 0
	s_and_saveexec_b64 s[74:75], vcc
	s_cbranch_execz .LBB58_76
; %bb.71:                               ;   in Loop: Header=BB58_53 Depth=2
	v_cmp_ngt_f32_e64 s[6:7], |v33|, |v17|
                                        ; implicit-def: $vgpr46
                                        ; implicit-def: $vgpr29
	s_and_saveexec_b64 s[76:77], s[6:7]
	s_xor_b64 s[76:77], exec, s[76:77]
	s_cbranch_execz .LBB58_73
; %bb.72:                               ;   in Loop: Header=BB58_53 Depth=2
	v_div_scale_f32 v25, s[6:7], v17, v17, -v33
	v_rcp_f32_e32 v29, v25
	v_div_scale_f32 v32, vcc, -v33, v17, -v33
	v_fma_f32 v46, -v25, v29, 1.0
	v_fmac_f32_e32 v29, v46, v29
	v_mul_f32_e32 v46, v32, v29
	v_fma_f32 v47, -v25, v46, v32
	v_fmac_f32_e32 v46, v47, v29
	v_fma_f32 v25, -v25, v46, v32
	v_div_fmas_f32 v25, v25, v29, v46
	v_div_fixup_f32 v17, v25, v17, -v33
	v_fma_f32 v25, v17, v17, 1.0
	v_mul_f32_e32 v29, 0x4f800000, v25
	v_cmp_gt_f32_e32 vcc, s54, v25
	v_cndmask_b32_e32 v25, v25, v29, vcc
	v_sqrt_f32_e32 v29, v25
	v_add_u32_e32 v32, -1, v29
	v_fma_f32 v46, -v32, v29, v25
	v_cmp_ge_f32_e64 s[6:7], 0, v46
	v_add_u32_e32 v46, 1, v29
	v_cndmask_b32_e64 v32, v29, v32, s[6:7]
	v_fma_f32 v29, -v46, v29, v25
	v_cmp_lt_f32_e64 s[6:7], 0, v29
	v_cndmask_b32_e64 v29, v32, v46, s[6:7]
	v_mul_f32_e32 v32, 0x37800000, v29
	v_cndmask_b32_e32 v29, v29, v32, vcc
	v_cmp_class_f32_e32 vcc, v25, v41
	v_cndmask_b32_e32 v25, v29, v25, vcc
	v_div_scale_f32 v29, s[6:7], v25, v25, 1.0
	v_rcp_f32_e32 v32, v29
	v_fma_f32 v46, -v29, v32, 1.0
	v_fmac_f32_e32 v32, v46, v32
	v_div_scale_f32 v46, vcc, 1.0, v25, 1.0
	v_mul_f32_e32 v47, v46, v32
	v_fma_f32 v48, -v29, v47, v46
	v_fmac_f32_e32 v47, v48, v32
	v_fma_f32 v29, -v29, v47, v46
	v_div_fmas_f32 v29, v29, v32, v47
	v_div_fixup_f32 v29, v29, v25, 1.0
	v_mul_f32_e32 v46, v17, v29
                                        ; implicit-def: $vgpr17
.LBB58_73:                              ;   in Loop: Header=BB58_53 Depth=2
	s_andn2_saveexec_b64 s[76:77], s[76:77]
	s_cbranch_execz .LBB58_75
; %bb.74:                               ;   in Loop: Header=BB58_53 Depth=2
	v_div_scale_f32 v25, s[6:7], v33, v33, -v17
	v_rcp_f32_e32 v29, v25
	v_div_scale_f32 v32, vcc, -v17, v33, -v17
	v_fma_f32 v46, -v25, v29, 1.0
	v_fmac_f32_e32 v29, v46, v29
	v_mul_f32_e32 v46, v32, v29
	v_fma_f32 v47, -v25, v46, v32
	v_fmac_f32_e32 v46, v47, v29
	v_fma_f32 v25, -v25, v46, v32
	v_div_fmas_f32 v25, v25, v29, v46
	v_div_fixup_f32 v17, v25, v33, -v17
	v_fma_f32 v25, v17, v17, 1.0
	v_mul_f32_e32 v29, 0x4f800000, v25
	v_cmp_gt_f32_e32 vcc, s54, v25
	v_cndmask_b32_e32 v25, v25, v29, vcc
	v_sqrt_f32_e32 v29, v25
	v_add_u32_e32 v32, -1, v29
	v_fma_f32 v46, -v32, v29, v25
	v_cmp_ge_f32_e64 s[6:7], 0, v46
	v_add_u32_e32 v46, 1, v29
	v_cndmask_b32_e64 v32, v29, v32, s[6:7]
	v_fma_f32 v29, -v46, v29, v25
	v_cmp_lt_f32_e64 s[6:7], 0, v29
	v_cndmask_b32_e64 v29, v32, v46, s[6:7]
	v_mul_f32_e32 v32, 0x37800000, v29
	v_cndmask_b32_e32 v29, v29, v32, vcc
	v_cmp_class_f32_e32 vcc, v25, v41
	v_cndmask_b32_e32 v25, v29, v25, vcc
	v_div_scale_f32 v29, s[6:7], v25, v25, 1.0
	v_rcp_f32_e32 v32, v29
	v_fma_f32 v46, -v29, v32, 1.0
	v_fmac_f32_e32 v32, v46, v32
	v_div_scale_f32 v46, vcc, 1.0, v25, 1.0
	v_mul_f32_e32 v47, v46, v32
	v_fma_f32 v48, -v29, v47, v46
	v_fmac_f32_e32 v47, v48, v32
	v_fma_f32 v29, -v29, v47, v46
	v_div_fmas_f32 v29, v29, v32, v47
	v_div_fixup_f32 v46, v29, v25, 1.0
	v_mul_f32_e32 v29, v17, v46
.LBB58_75:                              ;   in Loop: Header=BB58_53 Depth=2
	s_or_b64 exec, exec, s[76:77]
.LBB58_76:                              ;   in Loop: Header=BB58_53 Depth=2
	s_or_b64 exec, exec, s[74:75]
.LBB58_77:                              ;   in Loop: Header=BB58_53 Depth=2
	s_or_b64 exec, exec, s[72:73]
	global_load_dword v17, v[34:35], off offset:-4
	v_mov_b32_e32 v47, s49
	v_add_co_u32_e32 v36, vcc, s48, v36
	v_addc_co_u32_e32 v37, vcc, v47, v37, vcc
	v_add_f32_e32 v25, v29, v29
	v_mov_b32_e32 v49, s53
	v_add_co_u32_e32 v48, vcc, s52, v36
	v_add_u32_e32 v32, -1, v28
	v_addc_co_u32_e32 v49, vcc, v37, v49, vcc
	v_cmp_gt_i32_e32 vcc, v32, v24
	s_waitcnt vmcnt(0)
	v_sub_f32_e32 v17, v17, v45
	v_mul_f32_e32 v17, v46, v17
	v_fma_f32 v17, v33, v25, -v17
	v_mul_f32_e64 v25, v17, -v46
	v_fma_f32 v45, v17, -v46, v45
	v_fma_f32 v17, v29, v17, -v33
	ds_write_b32 v38, v25 offset:8
	global_store_dword v[34:35], v45, off
	global_store_dword v[36:37], v29, off
	global_store_dword v[48:49], v46, off offset:-4
	s_and_saveexec_b64 s[72:73], vcc
	s_cbranch_execz .LBB58_93
; %bb.78:                               ;   in Loop: Header=BB58_53 Depth=2
	v_ashrrev_i32_e32 v33, 31, v32
	v_readlane_b32 s80, v62, 0
	v_xor_b32_e32 v45, 0x80000000, v46
	v_lshlrev_b64 v[32:33], 2, v[32:33]
	s_mov_b32 s41, -1
	s_mov_b64 s[74:75], 0
	s_mov_b64 s[76:77], s[46:47]
	;; [unrolled: 1-line block ×3, first 2 shown]
	v_readlane_b32 s81, v62, 1
	s_mov_b64 s[82:83], s[48:49]
	s_branch .LBB58_80
.LBB58_79:                              ;   in Loop: Header=BB58_80 Depth=3
	v_mov_b32_e32 v17, s79
	v_add_co_u32_e32 v34, vcc, s78, v32
	v_addc_co_u32_e32 v35, vcc, v17, v33, vcc
	global_load_dwordx2 v[48:49], v[34:35], off offset:-4
	v_mul_f32_e32 v17, v29, v36
	v_mov_b32_e32 v36, s83
	v_add_co_u32_e32 v50, vcc, s82, v32
	s_add_u32 s82, s82, -4
	v_addc_co_u32_e32 v51, vcc, v36, v33, vcc
	s_addc_u32 s83, s83, -1
	v_add_co_u32_e32 v52, vcc, s80, v32
	s_add_u32 s80, s80, -4
	v_mov_b32_e32 v47, s81
	s_addc_u32 s81, s81, -1
	s_add_i32 s41, s41, -1
	v_addc_co_u32_e32 v53, vcc, v47, v33, vcc
	v_add_u32_e32 v36, s41, v28
	s_add_u32 s78, s78, -4
	v_cmp_le_i32_e32 vcc, v36, v24
	s_addc_u32 s79, s79, -1
	v_add_f32_e32 v29, v37, v37
	s_add_u32 s76, s76, -4
	s_addc_u32 s77, s77, -1
	v_xor_b32_e32 v45, 0x80000000, v46
	s_or_b64 s[74:75], vcc, s[74:75]
	s_waitcnt vmcnt(0)
	v_sub_f32_e32 v36, v49, v25
	v_sub_f32_e32 v25, v48, v36
	v_mul_f32_e32 v25, v46, v25
	v_fma_f32 v29, v17, v29, -v25
	v_mul_f32_e64 v25, v29, -v46
	v_fma_f32 v36, v29, -v46, v36
	v_fma_f32 v17, v37, v29, -v17
	v_mov_b32_e32 v29, v37
	global_store_dword v[34:35], v36, off
	global_store_dword v[50:51], v37, off
	;; [unrolled: 1-line block ×3, first 2 shown]
	s_andn2_b64 exec, exec, s[74:75]
	s_cbranch_execz .LBB58_92
.LBB58_80:                              ;   Parent Loop BB58_7 Depth=1
                                        ;     Parent Loop BB58_53 Depth=2
                                        ; =>    This Inner Loop Header: Depth=3
	v_mov_b32_e32 v35, s77
	v_add_co_u32_e32 v34, vcc, s76, v32
	v_addc_co_u32_e32 v35, vcc, v35, v33, vcc
	global_load_dword v36, v[34:35], off
	v_mov_b32_e32 v37, 1.0
	v_mov_b32_e32 v46, 0
	s_waitcnt vmcnt(0)
	v_mul_f32_e32 v45, v45, v36
	v_cmp_neq_f32_e32 vcc, 0, v45
	s_and_saveexec_b64 s[84:85], vcc
	s_cbranch_execz .LBB58_90
; %bb.81:                               ;   in Loop: Header=BB58_80 Depth=3
	v_cmp_neq_f32_e32 vcc, 0, v17
                                        ; implicit-def: $vgpr46
                                        ; implicit-def: $vgpr37
	s_and_saveexec_b64 s[6:7], vcc
	s_xor_b64 s[86:87], exec, s[6:7]
	s_cbranch_execz .LBB58_87
; %bb.82:                               ;   in Loop: Header=BB58_80 Depth=3
	v_cmp_ngt_f32_e64 s[6:7], |v45|, |v17|
                                        ; implicit-def: $vgpr46
                                        ; implicit-def: $vgpr37
	s_and_saveexec_b64 s[88:89], s[6:7]
	s_xor_b64 s[88:89], exec, s[88:89]
	s_cbranch_execz .LBB58_84
; %bb.83:                               ;   in Loop: Header=BB58_80 Depth=3
	v_div_scale_f32 v37, s[6:7], v17, v17, -v45
	v_rcp_f32_e32 v46, v37
	v_div_scale_f32 v47, vcc, -v45, v17, -v45
	v_fma_f32 v48, -v37, v46, 1.0
	v_fmac_f32_e32 v46, v48, v46
	v_mul_f32_e32 v48, v47, v46
	v_fma_f32 v49, -v37, v48, v47
	v_fmac_f32_e32 v48, v49, v46
	v_fma_f32 v37, -v37, v48, v47
	v_div_fmas_f32 v37, v37, v46, v48
	v_div_fixup_f32 v46, v37, v17, -v45
	v_fma_f32 v37, v46, v46, 1.0
	v_mul_f32_e32 v47, 0x4f800000, v37
	v_cmp_gt_f32_e32 vcc, s54, v37
	v_cndmask_b32_e32 v37, v37, v47, vcc
	v_sqrt_f32_e32 v47, v37
	v_add_u32_e32 v48, -1, v47
	v_fma_f32 v49, -v48, v47, v37
	v_cmp_ge_f32_e64 s[6:7], 0, v49
	v_add_u32_e32 v49, 1, v47
	v_cndmask_b32_e64 v48, v47, v48, s[6:7]
	v_fma_f32 v47, -v49, v47, v37
	v_cmp_lt_f32_e64 s[6:7], 0, v47
	v_cndmask_b32_e64 v47, v48, v49, s[6:7]
	v_mul_f32_e32 v48, 0x37800000, v47
	v_cndmask_b32_e32 v47, v47, v48, vcc
	v_cmp_class_f32_e32 vcc, v37, v41
	v_cndmask_b32_e32 v37, v47, v37, vcc
	v_div_scale_f32 v47, s[6:7], v37, v37, 1.0
	v_rcp_f32_e32 v48, v47
	v_fma_f32 v49, -v47, v48, 1.0
	v_fmac_f32_e32 v48, v49, v48
	v_div_scale_f32 v49, vcc, 1.0, v37, 1.0
	v_mul_f32_e32 v50, v49, v48
	v_fma_f32 v51, -v47, v50, v49
	v_fmac_f32_e32 v50, v51, v48
	v_fma_f32 v47, -v47, v50, v49
	v_div_fmas_f32 v47, v47, v48, v50
	v_div_fixup_f32 v37, v47, v37, 1.0
	v_mul_f32_e32 v46, v46, v37
.LBB58_84:                              ;   in Loop: Header=BB58_80 Depth=3
	s_andn2_saveexec_b64 s[88:89], s[88:89]
	s_cbranch_execz .LBB58_86
; %bb.85:                               ;   in Loop: Header=BB58_80 Depth=3
	v_div_scale_f32 v37, s[6:7], v45, v45, -v17
	v_rcp_f32_e32 v46, v37
	v_div_scale_f32 v47, vcc, -v17, v45, -v17
	v_fma_f32 v48, -v37, v46, 1.0
	v_fmac_f32_e32 v46, v48, v46
	v_mul_f32_e32 v48, v47, v46
	v_fma_f32 v49, -v37, v48, v47
	v_fmac_f32_e32 v48, v49, v46
	v_fma_f32 v37, -v37, v48, v47
	v_div_fmas_f32 v37, v37, v46, v48
	v_div_fixup_f32 v37, v37, v45, -v17
	v_fma_f32 v46, v37, v37, 1.0
	v_mul_f32_e32 v47, 0x4f800000, v46
	v_cmp_gt_f32_e32 vcc, s54, v46
	v_cndmask_b32_e32 v46, v46, v47, vcc
	v_sqrt_f32_e32 v47, v46
	v_add_u32_e32 v48, -1, v47
	v_fma_f32 v49, -v48, v47, v46
	v_cmp_ge_f32_e64 s[6:7], 0, v49
	v_add_u32_e32 v49, 1, v47
	v_cndmask_b32_e64 v48, v47, v48, s[6:7]
	v_fma_f32 v47, -v49, v47, v46
	v_cmp_lt_f32_e64 s[6:7], 0, v47
	v_cndmask_b32_e64 v47, v48, v49, s[6:7]
	v_mul_f32_e32 v48, 0x37800000, v47
	v_cndmask_b32_e32 v47, v47, v48, vcc
	v_cmp_class_f32_e32 vcc, v46, v41
	v_cndmask_b32_e32 v46, v47, v46, vcc
	v_div_scale_f32 v47, s[6:7], v46, v46, 1.0
	v_rcp_f32_e32 v48, v47
	v_fma_f32 v49, -v47, v48, 1.0
	v_fmac_f32_e32 v48, v49, v48
	v_div_scale_f32 v49, vcc, 1.0, v46, 1.0
	v_mul_f32_e32 v50, v49, v48
	v_fma_f32 v51, -v47, v50, v49
	v_fmac_f32_e32 v50, v51, v48
	v_fma_f32 v47, -v47, v50, v49
	v_div_fmas_f32 v47, v47, v48, v50
	v_div_fixup_f32 v46, v47, v46, 1.0
	v_mul_f32_e32 v37, v37, v46
.LBB58_86:                              ;   in Loop: Header=BB58_80 Depth=3
	s_or_b64 exec, exec, s[88:89]
	v_mul_f32_e32 v45, v45, v46
	v_fma_f32 v17, v17, v37, -v45
                                        ; implicit-def: $vgpr45
.LBB58_87:                              ;   in Loop: Header=BB58_80 Depth=3
	s_andn2_saveexec_b64 s[6:7], s[86:87]
; %bb.88:                               ;   in Loop: Header=BB58_80 Depth=3
	v_xor_b32_e32 v17, 0x80000000, v45
	v_mov_b32_e32 v46, 1.0
	v_mov_b32_e32 v37, 0
; %bb.89:                               ;   in Loop: Header=BB58_80 Depth=3
	s_or_b64 exec, exec, s[6:7]
.LBB58_90:                              ;   in Loop: Header=BB58_80 Depth=3
	s_or_b64 exec, exec, s[84:85]
	s_cmp_eq_u32 s41, 0
	s_cbranch_scc1 .LBB58_79
; %bb.91:                               ;   in Loop: Header=BB58_80 Depth=3
	global_store_dword v[34:35], v17, off offset:4
	s_branch .LBB58_79
.LBB58_92:                              ;   in Loop: Header=BB58_53 Depth=2
	s_or_b64 exec, exec, s[74:75]
	s_mov_b32 s82, 0x667f3bcd
	s_mov_b32 s84, 0.5
	s_mov_b32 s83, 0x3ff6a09e
	s_mov_b32 s85, -0.5
	ds_write_b32 v38, v25 offset:8
.LBB58_93:                              ;   in Loop: Header=BB58_53 Depth=2
	s_or_b64 exec, exec, s[72:73]
	global_load_dword v32, v[26:27], off
.LBB58_94:                              ;   in Loop: Header=BB58_53 Depth=2
	s_or_b64 exec, exec, s[8:9]
	s_waitcnt vmcnt(0)
	v_sub_f32_e32 v24, v32, v25
	global_store_dword v[26:27], v24, off
	global_store_dword v[30:31], v17, off
                                        ; implicit-def: $vgpr30_vgpr31
                                        ; implicit-def: $vgpr26_vgpr27
                                        ; implicit-def: $vgpr24
                                        ; implicit-def: $vgpr32
.LBB58_95:                              ;   in Loop: Header=BB58_53 Depth=2
	s_andn2_saveexec_b64 s[70:71], s[70:71]
	s_cbranch_execz .LBB58_128
; %bb.96:                               ;   in Loop: Header=BB58_53 Depth=2
	v_mov_b32_e32 v17, s33
	v_add_co_u32_e32 v28, vcc, s14, v30
	v_addc_co_u32_e32 v29, vcc, v17, v31, vcc
	global_load_dword v33, v[26:27], off offset:4
	global_load_dword v35, v[28:29], off
                                        ; implicit-def: $vgpr34
	s_waitcnt vmcnt(1)
	v_sub_f32_e32 v25, v32, v33
	s_waitcnt vmcnt(0)
	v_add_f32_e32 v17, v35, v35
	v_and_b32_e32 v36, 0x7fffffff, v17
	v_cmp_ngt_f32_e64 s[6:7], |v25|, |v17|
	s_and_saveexec_b64 s[8:9], s[6:7]
	s_xor_b64 s[8:9], exec, s[8:9]
	s_cbranch_execz .LBB58_102
; %bb.97:                               ;   in Loop: Header=BB58_53 Depth=2
	v_cmp_nlt_f32_e64 s[6:7], |v25|, |v17|
                                        ; implicit-def: $vgpr34
	s_and_saveexec_b64 s[72:73], s[6:7]
	s_xor_b64 s[6:7], exec, s[72:73]
; %bb.98:                               ;   in Loop: Header=BB58_53 Depth=2
	v_cvt_f64_f32_e32 v[36:37], v36
	v_mul_f64 v[36:37], v[36:37], s[82:83]
	v_cvt_f32_f64_e32 v34, v[36:37]
                                        ; implicit-def: $vgpr36
; %bb.99:                               ;   in Loop: Header=BB58_53 Depth=2
	s_andn2_saveexec_b64 s[72:73], s[6:7]
	s_cbranch_execz .LBB58_101
; %bb.100:                              ;   in Loop: Header=BB58_53 Depth=2
	v_and_b32_e32 v34, 0x7fffffff, v25
	v_div_scale_f32 v37, s[6:7], v36, v36, v34
	v_rcp_f32_e32 v45, v37
	v_div_scale_f32 v34, vcc, v34, v36, v34
	v_fma_f32 v36, -v37, v45, 1.0
	v_fmac_f32_e32 v45, v36, v45
	v_mul_f32_e32 v36, v34, v45
	v_fma_f32 v46, -v37, v36, v34
	v_fmac_f32_e32 v36, v46, v45
	v_fma_f32 v34, -v37, v36, v34
	v_div_fmas_f32 v34, v34, v45, v36
	v_div_fixup_f32 v34, v34, |v17|, |v25|
	v_fma_f32 v34, v34, v34, 1.0
	v_mul_f32_e32 v36, 0x4f800000, v34
	v_cmp_gt_f32_e32 vcc, s54, v34
	v_cndmask_b32_e32 v34, v34, v36, vcc
	v_sqrt_f32_e32 v36, v34
	v_add_u32_e32 v37, -1, v36
	v_fma_f32 v45, -v37, v36, v34
	v_cmp_ge_f32_e64 s[6:7], 0, v45
	v_add_u32_e32 v45, 1, v36
	v_cndmask_b32_e64 v37, v36, v37, s[6:7]
	v_fma_f32 v36, -v45, v36, v34
	v_cmp_lt_f32_e64 s[6:7], 0, v36
	v_cndmask_b32_e64 v36, v37, v45, s[6:7]
	v_mul_f32_e32 v37, 0x37800000, v36
	v_cndmask_b32_e32 v36, v36, v37, vcc
	v_cmp_class_f32_e32 vcc, v34, v41
	v_cndmask_b32_e32 v34, v36, v34, vcc
	v_mul_f32_e64 v34, |v17|, v34
.LBB58_101:                             ;   in Loop: Header=BB58_53 Depth=2
	s_or_b64 exec, exec, s[72:73]
                                        ; implicit-def: $vgpr36
.LBB58_102:                             ;   in Loop: Header=BB58_53 Depth=2
	s_andn2_saveexec_b64 s[8:9], s[8:9]
	s_cbranch_execz .LBB58_104
; %bb.103:                              ;   in Loop: Header=BB58_53 Depth=2
	v_and_b32_e32 v34, 0x7fffffff, v25
	v_div_scale_f32 v37, s[6:7], v34, v34, v36
	v_rcp_f32_e32 v45, v37
	v_div_scale_f32 v34, vcc, v36, v34, v36
	v_fma_f32 v36, -v37, v45, 1.0
	v_fmac_f32_e32 v45, v36, v45
	v_mul_f32_e32 v36, v34, v45
	v_fma_f32 v46, -v37, v36, v34
	v_fmac_f32_e32 v36, v46, v45
	v_fma_f32 v34, -v37, v36, v34
	v_div_fmas_f32 v34, v34, v45, v36
	v_div_fixup_f32 v34, v34, |v25|, |v17|
	v_fma_f32 v34, v34, v34, 1.0
	v_mul_f32_e32 v36, 0x4f800000, v34
	v_cmp_gt_f32_e32 vcc, s54, v34
	v_cndmask_b32_e32 v34, v34, v36, vcc
	v_sqrt_f32_e32 v36, v34
	v_add_u32_e32 v37, -1, v36
	v_fma_f32 v45, -v37, v36, v34
	v_cmp_ge_f32_e64 s[6:7], 0, v45
	v_add_u32_e32 v45, 1, v36
	v_cndmask_b32_e64 v37, v36, v37, s[6:7]
	v_fma_f32 v36, -v45, v36, v34
	v_cmp_lt_f32_e64 s[6:7], 0, v36
	v_cndmask_b32_e64 v36, v37, v45, s[6:7]
	v_mul_f32_e32 v37, 0x37800000, v36
	v_cndmask_b32_e32 v36, v36, v37, vcc
	v_cmp_class_f32_e32 vcc, v34, v41
	v_cndmask_b32_e32 v34, v36, v34, vcc
	v_mul_f32_e64 v34, |v25|, v34
.LBB58_104:                             ;   in Loop: Header=BB58_53 Depth=2
	s_or_b64 exec, exec, s[8:9]
	v_add_f32_e32 v45, v32, v33
	v_cmp_gt_f32_e64 vcc, |v32|, |v33|
	v_cndmask_b32_e32 v37, v32, v33, vcc
	v_cndmask_b32_e32 v46, v33, v32, vcc
	v_cmp_ngt_f32_e32 vcc, 0, v45
                                        ; implicit-def: $vgpr36
                                        ; implicit-def: $vgpr32_vgpr33
	s_and_saveexec_b64 s[6:7], vcc
	s_xor_b64 s[6:7], exec, s[6:7]
	s_cbranch_execz .LBB58_110
; %bb.105:                              ;   in Loop: Header=BB58_53 Depth=2
	v_cmp_nlt_f32_e32 vcc, 0, v45
                                        ; implicit-def: $sgpr41
                                        ; implicit-def: $vgpr32_vgpr33
	s_and_saveexec_b64 s[8:9], vcc
	s_xor_b64 s[8:9], exec, s[8:9]
; %bb.106:                              ;   in Loop: Header=BB58_53 Depth=2
	v_pk_mul_f32 v[32:33], v[34:35], s[84:85] op_sel_hi:[0,1]
	s_mov_b32 s41, 1
                                        ; implicit-def: $vgpr45
                                        ; implicit-def: $vgpr46
                                        ; implicit-def: $vgpr37
                                        ; implicit-def: $vgpr35
; %bb.107:                              ;   in Loop: Header=BB58_53 Depth=2
	s_or_saveexec_b64 s[8:9], s[8:9]
	v_mov_b32_e32 v36, s41
	s_xor_b64 exec, exec, s[8:9]
	s_cbranch_execz .LBB58_109
; %bb.108:                              ;   in Loop: Header=BB58_53 Depth=2
	v_add_f32_e32 v32, v45, v34
	v_mul_f32_e32 v32, 0.5, v32
	v_cvt_f64_f32_e32 v[46:47], v46
	v_cvt_f64_f32_e32 v[48:49], v32
	v_div_scale_f64 v[50:51], s[72:73], v[48:49], v[48:49], v[46:47]
	v_rcp_f64_e32 v[52:53], v[50:51]
	v_cvt_f64_f32_e32 v[36:37], v37
	v_fma_f64 v[54:55], -v[50:51], v[52:53], 1.0
	v_fmac_f64_e32 v[52:53], v[52:53], v[54:55]
	v_fma_f64 v[54:55], -v[50:51], v[52:53], 1.0
	v_fmac_f64_e32 v[52:53], v[52:53], v[54:55]
	v_div_scale_f64 v[54:55], vcc, v[46:47], v[48:49], v[46:47]
	v_mul_f64 v[56:57], v[54:55], v[52:53]
	v_fma_f64 v[50:51], -v[50:51], v[56:57], v[54:55]
	v_cvt_f64_f32_e32 v[54:55], v35
	v_div_scale_f64 v[58:59], s[72:73], v[48:49], v[48:49], v[54:55]
	v_rcp_f64_e32 v[60:61], v[58:59]
	v_div_fmas_f64 v[50:51], v[50:51], v[52:53], v[56:57]
	v_div_fixup_f64 v[46:47], v[50:51], v[48:49], v[46:47]
	v_fma_f64 v[50:51], -v[58:59], v[60:61], 1.0
	v_fmac_f64_e32 v[60:61], v[60:61], v[50:51]
	v_fma_f64 v[50:51], -v[58:59], v[60:61], 1.0
	v_fmac_f64_e32 v[60:61], v[60:61], v[50:51]
	v_div_scale_f64 v[50:51], vcc, v[54:55], v[48:49], v[54:55]
	v_mul_f64 v[52:53], v[50:51], v[60:61]
	v_fma_f64 v[50:51], -v[58:59], v[52:53], v[50:51]
	s_nop 1
	v_div_fmas_f64 v[50:51], v[50:51], v[60:61], v[52:53]
	v_div_fixup_f64 v[48:49], v[50:51], v[48:49], v[54:55]
	v_mul_f64 v[48:49], v[48:49], v[54:55]
	v_fma_f64 v[36:37], v[46:47], v[36:37], -v[48:49]
	v_cvt_f32_f64_e32 v33, v[36:37]
	v_mov_b32_e32 v36, 1
.LBB58_109:                             ;   in Loop: Header=BB58_53 Depth=2
	s_or_b64 exec, exec, s[8:9]
                                        ; implicit-def: $vgpr45
                                        ; implicit-def: $vgpr46
                                        ; implicit-def: $vgpr37
                                        ; implicit-def: $vgpr35
.LBB58_110:                             ;   in Loop: Header=BB58_53 Depth=2
	s_andn2_saveexec_b64 s[6:7], s[6:7]
	s_cbranch_execz .LBB58_112
; %bb.111:                              ;   in Loop: Header=BB58_53 Depth=2
	v_sub_f32_e32 v32, v45, v34
	v_mul_f32_e32 v32, 0.5, v32
	v_cvt_f64_f32_e32 v[46:47], v46
	v_cvt_f64_f32_e32 v[48:49], v32
	v_div_scale_f64 v[50:51], s[8:9], v[48:49], v[48:49], v[46:47]
	v_rcp_f64_e32 v[52:53], v[50:51]
	v_cvt_f64_f32_e32 v[36:37], v37
	v_fma_f64 v[54:55], -v[50:51], v[52:53], 1.0
	v_fmac_f64_e32 v[52:53], v[52:53], v[54:55]
	v_fma_f64 v[54:55], -v[50:51], v[52:53], 1.0
	v_fmac_f64_e32 v[52:53], v[52:53], v[54:55]
	v_div_scale_f64 v[54:55], vcc, v[46:47], v[48:49], v[46:47]
	v_mul_f64 v[56:57], v[54:55], v[52:53]
	v_fma_f64 v[50:51], -v[50:51], v[56:57], v[54:55]
	v_cvt_f64_f32_e32 v[54:55], v35
	v_div_scale_f64 v[58:59], s[8:9], v[48:49], v[48:49], v[54:55]
	v_rcp_f64_e32 v[60:61], v[58:59]
	v_div_fmas_f64 v[50:51], v[50:51], v[52:53], v[56:57]
	v_div_fixup_f64 v[46:47], v[50:51], v[48:49], v[46:47]
	v_fma_f64 v[50:51], -v[58:59], v[60:61], 1.0
	v_fmac_f64_e32 v[60:61], v[60:61], v[50:51]
	v_fma_f64 v[50:51], -v[58:59], v[60:61], 1.0
	v_fmac_f64_e32 v[60:61], v[60:61], v[50:51]
	v_div_scale_f64 v[50:51], vcc, v[54:55], v[48:49], v[54:55]
	v_mul_f64 v[52:53], v[50:51], v[60:61]
	v_fma_f64 v[50:51], -v[58:59], v[52:53], v[50:51]
	s_nop 1
	v_div_fmas_f64 v[50:51], v[50:51], v[60:61], v[52:53]
	v_div_fixup_f64 v[48:49], v[50:51], v[48:49], v[54:55]
	v_mul_f64 v[48:49], v[48:49], v[54:55]
	v_fma_f64 v[36:37], v[46:47], v[36:37], -v[48:49]
	v_cvt_f32_f64_e32 v33, v[36:37]
	v_mov_b32_e32 v36, -1
.LBB58_112:                             ;   in Loop: Header=BB58_53 Depth=2
	s_or_b64 exec, exec, s[6:7]
	v_cmp_nle_f32_e64 s[6:7], 0, v25
	v_cndmask_b32_e64 v34, v34, -v34, s[6:7]
	v_add_f32_e32 v25, v25, v34
	v_cmp_ngt_f32_e64 s[8:9], |v25|, |v17|
                                        ; implicit-def: $vgpr34
                                        ; implicit-def: $vgpr35
	s_and_saveexec_b64 s[72:73], s[8:9]
	s_xor_b64 s[72:73], exec, s[72:73]
	s_cbranch_execz .LBB58_116
; %bb.113:                              ;   in Loop: Header=BB58_53 Depth=2
	v_cmp_neq_f32_e32 vcc, 0, v17
	v_mov_b32_e32 v34, 1.0
	v_mov_b32_e32 v35, 0
	s_and_saveexec_b64 s[74:75], vcc
	s_cbranch_execz .LBB58_115
; %bb.114:                              ;   in Loop: Header=BB58_53 Depth=2
	v_div_scale_f32 v34, s[8:9], v17, v17, -v25
	v_rcp_f32_e32 v35, v34
	v_div_scale_f32 v37, vcc, -v25, v17, -v25
	v_fma_f32 v45, -v34, v35, 1.0
	v_fmac_f32_e32 v35, v45, v35
	v_mul_f32_e32 v45, v37, v35
	v_fma_f32 v46, -v34, v45, v37
	v_fmac_f32_e32 v45, v46, v35
	v_fma_f32 v34, -v34, v45, v37
	v_div_fmas_f32 v34, v34, v35, v45
	v_div_fixup_f32 v17, v34, v17, -v25
	v_fma_f32 v25, v17, v17, 1.0
	v_mul_f32_e32 v34, 0x4f800000, v25
	v_cmp_gt_f32_e32 vcc, s54, v25
	v_cndmask_b32_e32 v25, v25, v34, vcc
	v_sqrt_f32_e32 v34, v25
	v_add_u32_e32 v35, -1, v34
	v_fma_f32 v37, -v35, v34, v25
	v_cmp_ge_f32_e64 s[8:9], 0, v37
	v_add_u32_e32 v37, 1, v34
	v_cndmask_b32_e64 v35, v34, v35, s[8:9]
	v_fma_f32 v34, -v37, v34, v25
	v_cmp_lt_f32_e64 s[8:9], 0, v34
	v_cndmask_b32_e64 v34, v35, v37, s[8:9]
	v_mul_f32_e32 v35, 0x37800000, v34
	v_cndmask_b32_e32 v34, v34, v35, vcc
	v_cmp_class_f32_e32 vcc, v25, v41
	v_cndmask_b32_e32 v25, v34, v25, vcc
	v_div_scale_f32 v34, s[8:9], v25, v25, 1.0
	v_rcp_f32_e32 v35, v34
	v_fma_f32 v37, -v34, v35, 1.0
	v_fmac_f32_e32 v35, v37, v35
	v_div_scale_f32 v37, vcc, 1.0, v25, 1.0
	v_mul_f32_e32 v45, v37, v35
	v_fma_f32 v46, -v34, v45, v37
	v_fmac_f32_e32 v45, v46, v35
	v_fma_f32 v34, -v34, v45, v37
	v_div_fmas_f32 v34, v34, v35, v45
	v_div_fixup_f32 v34, v34, v25, 1.0
	v_mul_f32_e32 v35, v17, v34
.LBB58_115:                             ;   in Loop: Header=BB58_53 Depth=2
	s_or_b64 exec, exec, s[74:75]
                                        ; implicit-def: $vgpr25
                                        ; implicit-def: $vgpr17
.LBB58_116:                             ;   in Loop: Header=BB58_53 Depth=2
	s_andn2_saveexec_b64 s[72:73], s[72:73]
	s_cbranch_execz .LBB58_118
; %bb.117:                              ;   in Loop: Header=BB58_53 Depth=2
	v_div_scale_f32 v34, s[8:9], v25, v25, -v17
	v_rcp_f32_e32 v35, v34
	v_div_scale_f32 v37, vcc, -v17, v25, -v17
	v_fma_f32 v45, -v34, v35, 1.0
	v_fmac_f32_e32 v35, v45, v35
	v_mul_f32_e32 v45, v37, v35
	v_fma_f32 v46, -v34, v45, v37
	v_fmac_f32_e32 v45, v46, v35
	v_fma_f32 v34, -v34, v45, v37
	v_div_fmas_f32 v34, v34, v35, v45
	v_div_fixup_f32 v17, v34, v25, -v17
	v_fma_f32 v25, v17, v17, 1.0
	v_mul_f32_e32 v34, 0x4f800000, v25
	v_cmp_gt_f32_e32 vcc, s54, v25
	v_cndmask_b32_e32 v25, v25, v34, vcc
	v_sqrt_f32_e32 v34, v25
	v_add_u32_e32 v35, -1, v34
	v_fma_f32 v37, -v35, v34, v25
	v_cmp_ge_f32_e64 s[8:9], 0, v37
	v_add_u32_e32 v37, 1, v34
	v_cndmask_b32_e64 v35, v34, v35, s[8:9]
	v_fma_f32 v34, -v37, v34, v25
	v_cmp_lt_f32_e64 s[8:9], 0, v34
	v_cndmask_b32_e64 v34, v35, v37, s[8:9]
	v_mul_f32_e32 v35, 0x37800000, v34
	v_cndmask_b32_e32 v34, v34, v35, vcc
	v_cmp_class_f32_e32 vcc, v25, v41
	v_cndmask_b32_e32 v25, v34, v25, vcc
	v_div_scale_f32 v34, s[8:9], v25, v25, 1.0
	v_rcp_f32_e32 v35, v34
	v_fma_f32 v37, -v34, v35, 1.0
	v_fmac_f32_e32 v35, v37, v35
	v_div_scale_f32 v37, vcc, 1.0, v25, 1.0
	v_mul_f32_e32 v45, v37, v35
	v_fma_f32 v46, -v34, v45, v37
	v_fmac_f32_e32 v45, v46, v35
	v_fma_f32 v34, -v34, v45, v37
	v_div_fmas_f32 v34, v34, v35, v45
	v_div_fixup_f32 v35, v34, v25, 1.0
	v_mul_f32_e32 v34, v17, v35
.LBB58_118:                             ;   in Loop: Header=BB58_53 Depth=2
	s_or_b64 exec, exec, s[72:73]
	v_cndmask_b32_e64 v17, 1, -1, s[6:7]
	v_cmp_eq_u32_e32 vcc, v36, v17
	v_cndmask_b32_e32 v17, v35, v34, vcc
	v_cndmask_b32_e64 v25, v34, -v35, vcc
	v_mov_b32_e32 v34, s93
	v_add_co_u32_e32 v30, vcc, s92, v30
	v_addc_co_u32_e32 v31, vcc, v34, v31, vcc
	global_store_dword v[30:31], v25, off
	v_mov_b32_e32 v25, s53
	v_add_co_u32_e32 v30, vcc, s52, v30
	v_addc_co_u32_e32 v31, vcc, v31, v25, vcc
	global_store_dword v[30:31], v17, off offset:-4
	global_store_dwordx2 v[26:27], v[32:33], off
	global_store_dword v[28:29], v38, off
	v_add_u32_e32 v17, 2, v24
	ds_write_b32 v38, v17
	s_or_b64 exec, exec, s[70:71]
                                        ; implicit-def: $vgpr17
.LBB58_119:                             ;   in Loop: Header=BB58_53 Depth=2
	s_andn2_saveexec_b64 s[6:7], s[68:69]
	s_cbranch_execz .LBB58_121
.LBB58_120:                             ;   in Loop: Header=BB58_53 Depth=2
	ds_write_b32 v38, v17
.LBB58_121:                             ;   in Loop: Header=BB58_53 Depth=2
	s_or_b64 exec, exec, s[6:7]
.LBB58_122:                             ;   in Loop: Header=BB58_53 Depth=2
	s_or_b64 exec, exec, s[66:67]
	s_waitcnt lgkmcnt(0)
	s_barrier
	ds_read_b64 v[24:25], v38
	s_waitcnt lgkmcnt(0)
	v_readfirstlane_b32 s6, v25
	v_cmp_eq_u32_e32 vcc, s6, v24
	v_mov_b32_e32 v24, s6
	s_cbranch_vccnz .LBB58_52
; %bb.123:                              ;   in Loop: Header=BB58_53 Depth=2
	s_and_saveexec_b64 s[8:9], s[2:3]
	s_cbranch_execz .LBB58_51
; %bb.124:                              ;   in Loop: Header=BB58_53 Depth=2
	ds_read_b32 v24, v38 offset:16
	v_mov_b32_e32 v28, v0
	s_waitcnt lgkmcnt(0)
	v_readfirstlane_b32 s7, v24
	s_mul_i32 s66, s7, s15
	s_ashr_i32 s67, s66, 31
	s_lshl_b64 s[68:69], s[66:67], 3
	s_add_u32 s41, s90, s68
	s_addc_u32 s70, s91, s69
	s_sub_i32 s71, s6, s7
	s_mul_hi_i32 s7, s71, s44
	s_mul_i32 s6, s71, s44
	s_lshl_b64 s[6:7], s[6:7], 3
	s_add_u32 s72, s41, s6
	s_addc_u32 s73, s70, s7
	s_cmp_gt_i32 s71, 0
	v_ashrrev_i32_e32 v25, 31, v24
	s_cselect_b64 s[66:67], -1, 0
	s_add_i32 s60, s71, -1
	v_lshlrev_b64 v[24:25], 2, v[24:25]
	s_lshl_b64 s[6:7], s[60:61], 2
	v_mov_b32_e32 v17, s7
	v_add_co_u32_e32 v24, vcc, s6, v24
	s_mul_i32 s6, s57, s60
	s_mul_hi_u32 s7, s56, s60
	v_addc_co_u32_e32 v17, vcc, v25, v17, vcc
	s_add_i32 s7, s7, s6
	s_mul_i32 s6, s56, s60
	v_mov_b32_e32 v25, s93
	v_add_co_u32_e32 v24, vcc, s92, v24
	s_add_u32 s6, s6, s68
	v_addc_co_u32_e32 v25, vcc, v25, v17, vcc
	s_addc_u32 s7, s7, s69
	v_mov_b32_e32 v17, s7
	v_add_co_u32_e32 v26, vcc, s6, v1
	v_addc_co_u32_e32 v27, vcc, v40, v17, vcc
	s_mov_b64 s[68:69], 0
	s_branch .LBB58_126
.LBB58_125:                             ;   in Loop: Header=BB58_126 Depth=3
	v_add_u32_e32 v28, s34, v28
	v_cmp_le_i32_e32 vcc, s10, v28
	v_mov_b32_e32 v17, s59
	s_or_b64 s[68:69], vcc, s[68:69]
	v_add_co_u32_e32 v26, vcc, s58, v26
	v_addc_co_u32_e32 v27, vcc, v27, v17, vcc
	s_waitcnt vmcnt(0)
	global_store_dwordx2 v[32:33], v[30:31], off
	s_andn2_b64 exec, exec, s[68:69]
	s_cbranch_execz .LBB58_51
.LBB58_126:                             ;   Parent Loop BB58_7 Depth=1
                                        ;     Parent Loop BB58_53 Depth=2
                                        ; =>    This Loop Header: Depth=3
                                        ;         Child Loop BB58_127 Depth 4
	v_ashrrev_i32_e32 v29, 31, v28
	v_lshlrev_b64 v[32:33], 3, v[28:29]
	v_mov_b32_e32 v17, s73
	v_add_co_u32_e32 v30, vcc, s72, v32
	v_addc_co_u32_e32 v31, vcc, v17, v33, vcc
	global_load_dwordx2 v[30:31], v[30:31], off
	v_mov_b32_e32 v17, s70
	v_add_co_u32_e32 v32, vcc, s41, v32
	v_addc_co_u32_e32 v33, vcc, v17, v33, vcc
	s_andn2_b64 vcc, exec, s[66:67]
	v_pk_mov_b32 v[34:35], v[26:27], v[26:27] op_sel:[0,1]
	v_pk_mov_b32 v[36:37], v[24:25], v[24:25] op_sel:[0,1]
	s_mov_b32 s6, s71
	s_cbranch_vccnz .LBB58_125
.LBB58_127:                             ;   Parent Loop BB58_7 Depth=1
                                        ;     Parent Loop BB58_53 Depth=2
                                        ;       Parent Loop BB58_126 Depth=3
                                        ; =>      This Inner Loop Header: Depth=4
	v_mov_b32_e32 v17, s62
	v_add_co_u32_e32 v48, vcc, s11, v36
	v_addc_co_u32_e32 v49, vcc, v37, v17, vcc
	global_load_dwordx2 v[46:47], v[34:35], off
	s_nop 0
	global_load_dword v48, v[48:49], off
	s_nop 0
	global_load_dword v50, v[36:37], off
	s_mul_i32 s75, s6, s45
	s_mul_hi_u32 s76, s6, s44
	s_mul_i32 s74, s6, s44
	v_mov_b32_e32 v17, s63
	v_add_co_u32_e32 v34, vcc, s35, v34
	s_add_i32 s75, s76, s75
	v_addc_co_u32_e32 v35, vcc, v35, v17, vcc
	s_lshl_b64 s[74:75], s[74:75], 3
	s_add_i32 s60, s6, -1
	v_add_co_u32_e64 v36, s[6:7], -4, v36
	v_mov_b32_e32 v17, s75
	v_add_co_u32_e32 v52, vcc, s74, v32
	v_addc_co_u32_e64 v37, s[6:7], -1, v37, s[6:7]
	v_addc_co_u32_e32 v53, vcc, v33, v17, vcc
	s_mov_b32 s6, s60
	s_cmp_eq_u32 s60, 0
	s_waitcnt vmcnt(1)
	v_mul_f32_e32 v17, v48, v46
	s_waitcnt vmcnt(0)
	v_pk_mul_f32 v[54:55], v[50:51], v[46:47] op_sel_hi:[0,1]
	v_mul_f32_e32 v29, v48, v47
	v_fma_f32 v46, v30, v50, -v17
	v_fma_f32 v47, v31, v50, -v29
	v_pk_fma_f32 v[30:31], v[30:31], v[48:49], v[54:55] op_sel_hi:[1,0,1]
	global_store_dwordx2 v[52:53], v[46:47], off
	s_cbranch_scc0 .LBB58_127
	s_branch .LBB58_125
.LBB58_128:                             ;   in Loop: Header=BB58_53 Depth=2
	s_or_b64 exec, exec, s[70:71]
                                        ; implicit-def: $vgpr17
	s_andn2_saveexec_b64 s[6:7], s[68:69]
	s_cbranch_execnz .LBB58_120
	s_branch .LBB58_121
.LBB58_129:                             ;   in Loop: Header=BB58_7 Depth=1
	v_pk_mov_b32 v[22:23], v[14:15], v[14:15] op_sel:[0,1]
	v_pk_mov_b32 v[20:21], v[12:13], v[12:13] op_sel:[0,1]
	v_mov_b32_e32 v44, v43
	s_branch .LBB58_6
.LBB58_130:                             ;   in Loop: Header=BB58_7 Depth=1
                                        ; implicit-def: $vgpr22_vgpr23
                                        ; implicit-def: $vgpr20_vgpr21
                                        ; implicit-def: $vgpr44
.LBB58_131:                             ;   in Loop: Header=BB58_7 Depth=1
	s_and_b64 vcc, exec, s[4:5]
	s_cbranch_vccz .LBB58_148
.LBB58_132:                             ;   in Loop: Header=BB58_7 Depth=1
	v_mov_b32_e32 v44, v43
	v_pk_mov_b32 v[20:21], v[12:13], v[12:13] op_sel:[0,1]
	v_pk_mov_b32 v[22:23], v[14:15], v[14:15] op_sel:[0,1]
.LBB58_133:                             ;   in Loop: Header=BB58_7 Depth=1
	s_barrier
	ds_read_b32 v18, v38 offset:24
	s_waitcnt lgkmcnt(0)
	v_cmp_nlt_f32_e32 vcc, s31, v18
	s_cbranch_vccnz .LBB58_140
; %bb.134:                              ;   in Loop: Header=BB58_7 Depth=1
	v_div_scale_f32 v14, s[4:5], v18, v18, s31
	v_rcp_f32_e32 v15, v14
	ds_read2_b32 v[12:13], v38 offset0:4 offset1:8
	v_fma_f32 v16, -v14, v15, 1.0
	v_fmac_f32_e32 v15, v16, v15
	v_div_scale_f32 v16, vcc, s31, v18, s31
	v_mul_f32_e32 v17, v16, v15
	v_fma_f32 v19, -v14, v17, v16
	v_fmac_f32_e32 v17, v19, v15
	v_fma_f32 v14, -v14, v17, v16
	v_div_fmas_f32 v14, v14, v15, v17
	v_div_fixup_f32 v19, v14, v18, s31
	s_and_saveexec_b64 s[4:5], s[0:1]
	s_cbranch_execz .LBB58_136
; %bb.135:                              ;   in Loop: Header=BB58_7 Depth=1
	s_waitcnt lgkmcnt(0)
	v_ashrrev_i32_e32 v15, 31, v13
	v_mov_b32_e32 v14, v13
	v_lshlrev_b64 v[14:15], 2, v[14:15]
	v_mov_b32_e32 v16, s23
	v_add_co_u32_e32 v14, vcc, s22, v14
	v_addc_co_u32_e32 v15, vcc, v16, v15, vcc
	global_load_dword v16, v[14:15], off
	s_waitcnt vmcnt(0)
	v_mul_f32_e32 v16, v19, v16
	global_store_dword v[14:15], v16, off
.LBB58_136:                             ;   in Loop: Header=BB58_7 Depth=1
	s_or_b64 exec, exec, s[4:5]
	s_waitcnt lgkmcnt(0)
	v_add_u32_e32 v14, v12, v0
	v_cmp_lt_i32_e32 vcc, v14, v13
	s_and_saveexec_b64 s[4:5], vcc
	s_cbranch_execz .LBB58_139
; %bb.137:                              ;   in Loop: Header=BB58_7 Depth=1
	v_ashrrev_i32_e32 v15, 31, v14
	v_lshlrev_b64 v[16:17], 2, v[14:15]
	s_mov_b64 s[6:7], 0
.LBB58_138:                             ;   Parent Loop BB58_7 Depth=1
                                        ; =>  This Inner Loop Header: Depth=2
	v_mov_b32_e32 v12, s23
	v_add_co_u32_e32 v24, vcc, s22, v16
	v_addc_co_u32_e32 v25, vcc, v12, v17, vcc
	global_load_dword v12, v[24:25], off
	v_mov_b32_e32 v15, s33
	v_add_co_u32_e32 v26, vcc, s14, v16
	v_addc_co_u32_e32 v27, vcc, v15, v17, vcc
	v_mov_b32_e32 v15, s51
	v_add_co_u32_e32 v16, vcc, s50, v16
	v_add_u32_e32 v14, s34, v14
	v_addc_co_u32_e32 v17, vcc, v17, v15, vcc
	v_cmp_ge_i32_e32 vcc, v14, v13
	s_or_b64 s[6:7], vcc, s[6:7]
	s_waitcnt vmcnt(0)
	v_mul_f32_e32 v12, v19, v12
	global_store_dword v[24:25], v12, off
	global_load_dword v12, v[26:27], off
	s_waitcnt vmcnt(0)
	v_mul_f32_e32 v12, v19, v12
	global_store_dword v[26:27], v12, off
	s_andn2_b64 exec, exec, s[6:7]
	s_cbranch_execnz .LBB58_138
.LBB58_139:                             ;   in Loop: Header=BB58_7 Depth=1
	s_or_b64 exec, exec, s[4:5]
.LBB58_140:                             ;   in Loop: Header=BB58_7 Depth=1
	v_cmp_ngt_f32_e32 vcc, s30, v18
	s_cbranch_vccnz .LBB58_5
; %bb.141:                              ;   in Loop: Header=BB58_7 Depth=1
	v_div_scale_f32 v14, s[4:5], v18, v18, s30
	v_rcp_f32_e32 v15, v14
	ds_read2_b32 v[12:13], v38 offset0:4 offset1:8
	v_fma_f32 v16, -v14, v15, 1.0
	v_fmac_f32_e32 v15, v16, v15
	v_div_scale_f32 v16, vcc, s30, v18, s30
	v_mul_f32_e32 v17, v16, v15
	v_fma_f32 v19, -v14, v17, v16
	v_fmac_f32_e32 v17, v19, v15
	v_fma_f32 v14, -v14, v17, v16
	v_div_fmas_f32 v14, v14, v15, v17
	v_div_fixup_f32 v18, v14, v18, s30
	s_and_saveexec_b64 s[4:5], s[0:1]
	s_cbranch_execz .LBB58_143
; %bb.142:                              ;   in Loop: Header=BB58_7 Depth=1
	s_waitcnt lgkmcnt(0)
	v_ashrrev_i32_e32 v15, 31, v13
	v_mov_b32_e32 v14, v13
	v_lshlrev_b64 v[14:15], 2, v[14:15]
	v_mov_b32_e32 v16, s23
	v_add_co_u32_e32 v14, vcc, s22, v14
	v_addc_co_u32_e32 v15, vcc, v16, v15, vcc
	global_load_dword v16, v[14:15], off
	s_waitcnt vmcnt(0)
	v_mul_f32_e32 v16, v18, v16
	global_store_dword v[14:15], v16, off
.LBB58_143:                             ;   in Loop: Header=BB58_7 Depth=1
	s_or_b64 exec, exec, s[4:5]
	s_waitcnt lgkmcnt(0)
	v_add_u32_e32 v14, v12, v0
	v_cmp_lt_i32_e32 vcc, v14, v13
	s_and_saveexec_b64 s[4:5], vcc
	s_cbranch_execz .LBB58_4
; %bb.144:                              ;   in Loop: Header=BB58_7 Depth=1
	v_ashrrev_i32_e32 v15, 31, v14
	v_lshlrev_b64 v[16:17], 2, v[14:15]
	s_mov_b64 s[6:7], 0
.LBB58_145:                             ;   Parent Loop BB58_7 Depth=1
                                        ; =>  This Inner Loop Header: Depth=2
	v_mov_b32_e32 v12, s23
	v_add_co_u32_e32 v24, vcc, s22, v16
	v_addc_co_u32_e32 v25, vcc, v12, v17, vcc
	global_load_dword v12, v[24:25], off
	v_mov_b32_e32 v15, s33
	v_add_co_u32_e32 v26, vcc, s14, v16
	v_addc_co_u32_e32 v27, vcc, v15, v17, vcc
	v_mov_b32_e32 v15, s51
	v_add_co_u32_e32 v16, vcc, s50, v16
	v_add_u32_e32 v14, s34, v14
	v_addc_co_u32_e32 v17, vcc, v17, v15, vcc
	v_cmp_ge_i32_e32 vcc, v14, v13
	s_or_b64 s[6:7], vcc, s[6:7]
	s_waitcnt vmcnt(0)
	v_mul_f32_e32 v12, v18, v12
	global_store_dword v[24:25], v12, off
	global_load_dword v12, v[26:27], off
	s_waitcnt vmcnt(0)
	v_mul_f32_e32 v12, v18, v12
	global_store_dword v[26:27], v12, off
	s_andn2_b64 exec, exec, s[6:7]
	s_cbranch_execnz .LBB58_145
	s_branch .LBB58_4
.LBB58_146:                             ;   in Loop: Header=BB58_148 Depth=2
	s_or_b64 exec, exec, s[4:5]
	s_barrier
	ds_read_b32 v16, v38
.LBB58_147:                             ;   in Loop: Header=BB58_148 Depth=2
	ds_read2_b32 v[18:19], v38 offset0:5 offset1:7
	s_waitcnt lgkmcnt(0)
	v_cmp_ge_i32_e32 vcc, v16, v18
	v_cmp_gt_i32_e64 s[4:5], s28, v19
	s_and_b64 s[4:5], vcc, s[4:5]
	s_andn2_b64 vcc, exec, s[4:5]
	s_cbranch_vccnz .LBB58_132
.LBB58_148:                             ;   Parent Loop BB58_7 Depth=1
                                        ; =>  This Loop Header: Depth=2
                                        ;       Child Loop BB58_156 Depth 3
                                        ;       Child Loop BB58_175 Depth 3
	;; [unrolled: 1-line block ×3, first 2 shown]
                                        ;         Child Loop BB58_222 Depth 4
	s_and_saveexec_b64 s[8:9], s[0:1]
	s_cbranch_execz .LBB58_217
; %bb.149:                              ;   in Loop: Header=BB58_148 Depth=2
	v_cmp_gt_i32_e32 vcc, v16, v18
	s_mov_b64 s[4:5], 0
	s_cbranch_vccnz .LBB58_153
; %bb.150:                              ;   in Loop: Header=BB58_148 Depth=2
	v_ashrrev_i32_e32 v17, 31, v16
	s_mov_b64 s[6:7], -1
	v_pk_mov_b32 v[20:21], v[16:17], v[16:17] op_sel:[0,1]
	v_mov_b32_e32 v22, v16
	s_cbranch_execz .LBB58_154
; %bb.151:                              ;   in Loop: Header=BB58_148 Depth=2
	s_and_b64 vcc, exec, s[6:7]
	s_cbranch_vccz .LBB58_159
.LBB58_152:                             ;   in Loop: Header=BB58_148 Depth=2
	ds_write2_b32 v38, v22, v16 offset0:1 offset1:4
	s_cbranch_execz .LBB58_160
	s_branch .LBB58_161
.LBB58_153:                             ;   in Loop: Header=BB58_148 Depth=2
                                        ; implicit-def: $vgpr20_vgpr21
	s_mov_b64 s[6:7], 0
	v_mov_b32_e32 v22, v16
.LBB58_154:                             ;   in Loop: Header=BB58_148 Depth=2
	v_ashrrev_i32_e32 v17, 31, v16
	v_lshlrev_b64 v[2:3], 2, v[16:17]
	v_mov_b32_e32 v5, s65
	v_add_co_u32_e32 v4, vcc, s64, v2
	v_addc_co_u32_e32 v5, vcc, v5, v3, vcc
	v_mov_b32_e32 v21, s33
	v_add_co_u32_e32 v20, vcc, s14, v2
	v_addc_co_u32_e32 v21, vcc, v21, v3, vcc
	v_mov_b32_e32 v22, v16
	s_branch .LBB58_156
.LBB58_155:                             ;   in Loop: Header=BB58_156 Depth=3
	v_add_u32_e32 v22, -1, v42
	v_add_co_u32_e32 v4, vcc, -4, v4
	v_addc_co_u32_e32 v5, vcc, -1, v5, vcc
	s_mov_b64 s[4:5], 0
	v_cmp_le_i32_e64 s[6:7], v22, v18
	s_andn2_b64 vcc, exec, s[6:7]
	v_pk_mov_b32 v[20:21], v[2:3], v[2:3] op_sel:[0,1]
	s_cbranch_vccz .LBB58_158
.LBB58_156:                             ;   Parent Loop BB58_7 Depth=1
                                        ;     Parent Loop BB58_148 Depth=2
                                        ; =>    This Inner Loop Header: Depth=3
	global_load_dword v23, v[20:21], off offset:-4
	global_load_dwordx2 v[24:25], v[4:5], off
	v_add_co_u32_e32 v2, vcc, -4, v20
	v_addc_co_u32_e32 v3, vcc, -1, v21, vcc
	v_mov_b32_e32 v42, v22
	s_waitcnt vmcnt(1)
	v_mul_f32_e32 v20, v23, v23
	s_waitcnt vmcnt(0)
	v_mul_f32_e32 v21, v25, v24
	v_mul_f32_e64 v21, v39, |v21|
	v_cmp_le_f32_e64 s[4:5], |v20|, v21
	s_and_b64 vcc, exec, s[4:5]
	s_cbranch_vccz .LBB58_155
; %bb.157:                              ;   in Loop: Header=BB58_148 Depth=2
	s_mov_b64 s[4:5], -1
                                        ; implicit-def: $vgpr22
                                        ; implicit-def: $vgpr4_vgpr5
	v_pk_mov_b32 v[20:21], v[2:3], v[2:3] op_sel:[0,1]
.LBB58_158:                             ;   in Loop: Header=BB58_148 Depth=2
	s_xor_b64 s[6:7], s[4:5], -1
	s_mov_b64 s[4:5], -1
	v_pk_mov_b32 v[4:5], v[16:17], v[16:17] op_sel:[0,1]
	v_mov_b32_e32 v22, v18
	v_pk_mov_b32 v[20:21], v[16:17], v[16:17] op_sel:[0,1]
	s_and_b64 vcc, exec, s[6:7]
	s_cbranch_vccnz .LBB58_152
.LBB58_159:                             ;   in Loop: Header=BB58_148 Depth=2
                                        ; implicit-def: $vgpr22
                                        ; implicit-def: $vgpr20_vgpr21
	s_andn2_b64 vcc, exec, s[4:5]
	s_cbranch_vccnz .LBB58_161
.LBB58_160:                             ;   in Loop: Header=BB58_148 Depth=2
	v_pk_mov_b32 v[20:21], v[4:5], v[4:5] op_sel:[0,1]
	v_mov_b32_e32 v22, v42
	ds_write2_b32 v38, v42, v16 offset0:1 offset1:4
	global_store_dword v[2:3], v38, off
.LBB58_161:                             ;   in Loop: Header=BB58_148 Depth=2
	v_lshlrev_b64 v[24:25], 2, v[20:21]
	v_mov_b32_e32 v17, s23
	v_add_co_u32_e32 v20, vcc, s22, v24
	v_addc_co_u32_e32 v21, vcc, v17, v25, vcc
	global_load_dword v31, v[20:21], off
	v_cmp_ne_u32_e32 vcc, v22, v16
	v_add_u32_e32 v17, -1, v16
	s_waitcnt vmcnt(0)
	ds_write_b32 v38, v31 offset:8
	s_and_saveexec_b64 s[4:5], vcc
	s_xor_b64 s[66:67], exec, s[4:5]
	s_cbranch_execz .LBB58_214
; %bb.162:                              ;   in Loop: Header=BB58_148 Depth=2
	v_cmp_ne_u32_e32 vcc, v22, v17
	s_and_saveexec_b64 s[4:5], vcc
	s_xor_b64 s[68:69], exec, s[4:5]
	s_cbranch_execz .LBB58_190
; %bb.163:                              ;   in Loop: Header=BB58_148 Depth=2
	v_mov_b32_e32 v18, s47
	v_add_co_u32_e32 v24, vcc, s46, v24
	v_addc_co_u32_e32 v25, vcc, v18, v25, vcc
	global_load_dword v17, v[20:21], off offset:-4
	global_load_dword v18, v[24:25], off
	v_ashrrev_i32_e32 v23, 31, v22
	v_lshlrev_b64 v[28:29], 2, v[22:23]
	v_mov_b32_e32 v27, s23
	v_add_co_u32_e32 v26, vcc, s22, v28
	v_addc_co_u32_e32 v27, vcc, v27, v29, vcc
	global_load_dword v32, v[26:27], off
	v_add_u32_e32 v19, 1, v19
	ds_write2_b32 v38, v38, v19 offset0:2 offset1:7
	s_waitcnt vmcnt(2)
	v_sub_f32_e32 v17, v17, v31
	s_waitcnt vmcnt(1)
	v_add_f32_e32 v23, v18, v18
	v_div_scale_f32 v30, s[4:5], v23, v23, v17
	v_rcp_f32_e32 v33, v30
	v_div_scale_f32 v34, vcc, v17, v23, v17
	v_cmp_lt_i32_e64 s[4:5], v22, v16
	v_fma_f32 v35, -v30, v33, 1.0
	v_fmac_f32_e32 v33, v35, v33
	v_mul_f32_e32 v35, v34, v33
	v_fma_f32 v36, -v30, v35, v34
	v_fmac_f32_e32 v35, v36, v33
	v_fma_f32 v30, -v30, v35, v34
	v_div_fmas_f32 v30, v30, v33, v35
	v_div_fixup_f32 v17, v30, v23, v17
	v_fma_f32 v23, v17, v17, 1.0
	v_mul_f32_e32 v30, 0x4f800000, v23
	v_cmp_gt_f32_e32 vcc, s54, v23
	v_cndmask_b32_e32 v23, v23, v30, vcc
	v_sqrt_f32_e32 v30, v23
	v_add_u32_e32 v19, -1, v30
	v_add_u32_e32 v33, 1, v30
	v_fma_f32 v34, -v19, v30, v23
	v_fma_f32 v35, -v33, v30, v23
	v_cmp_ge_f32_e64 s[6:7], 0, v34
	v_cndmask_b32_e64 v19, v30, v19, s[6:7]
	v_cmp_lt_f32_e64 s[6:7], 0, v35
	v_cndmask_b32_e64 v19, v19, v33, s[6:7]
	v_mul_f32_e32 v30, 0x37800000, v19
	v_cndmask_b32_e32 v19, v19, v30, vcc
	v_cmp_class_f32_e32 vcc, v23, v41
	v_cndmask_b32_e32 v19, v19, v23, vcc
	v_cmp_nle_f32_e32 vcc, 0, v17
	v_cndmask_b32_e64 v19, |v19|, -|v19|, vcc
	v_add_f32_e32 v17, v17, v19
	v_div_scale_f32 v19, s[6:7], v17, v17, v18
	v_rcp_f32_e32 v23, v19
	v_div_scale_f32 v33, vcc, v18, v17, v18
	s_waitcnt vmcnt(0)
	v_sub_f32_e32 v30, v32, v31
	v_fma_f32 v34, -v19, v23, 1.0
	v_fmac_f32_e32 v23, v34, v23
	v_mul_f32_e32 v34, v33, v23
	v_fma_f32 v35, -v19, v34, v33
	v_fmac_f32_e32 v34, v35, v23
	v_fma_f32 v19, -v19, v34, v33
	v_div_fmas_f32 v19, v19, v23, v34
	v_div_fixup_f32 v17, v19, v17, v18
	v_add_f32_e32 v17, v30, v17
	v_mov_b32_e32 v30, 0
	s_and_saveexec_b64 s[6:7], s[4:5]
	s_cbranch_execz .LBB58_189
; %bb.164:                              ;   in Loop: Header=BB58_148 Depth=2
	v_mov_b32_e32 v19, s33
	v_add_co_u32_e32 v18, vcc, s14, v28
	v_addc_co_u32_e32 v19, vcc, v19, v29, vcc
	global_load_dword v19, v[18:19], off
	v_mov_b32_e32 v23, 1.0
	v_mov_b32_e32 v31, 0
	s_waitcnt vmcnt(0)
	v_cmp_neq_f32_e32 vcc, 0, v19
	s_and_saveexec_b64 s[70:71], vcc
	s_cbranch_execz .LBB58_172
; %bb.165:                              ;   in Loop: Header=BB58_148 Depth=2
	v_cmp_neq_f32_e32 vcc, 0, v17
	v_mov_b32_e32 v31, 1.0
	v_mov_b32_e32 v23, 0
	s_and_saveexec_b64 s[72:73], vcc
	s_cbranch_execz .LBB58_171
; %bb.166:                              ;   in Loop: Header=BB58_148 Depth=2
	v_cmp_ngt_f32_e64 s[4:5], |v19|, |v17|
                                        ; implicit-def: $vgpr31
                                        ; implicit-def: $vgpr23
	s_and_saveexec_b64 s[74:75], s[4:5]
	s_xor_b64 s[74:75], exec, s[74:75]
	s_cbranch_execz .LBB58_168
; %bb.167:                              ;   in Loop: Header=BB58_148 Depth=2
	v_div_scale_f32 v18, s[4:5], v17, v17, -v19
	v_rcp_f32_e32 v23, v18
	v_div_scale_f32 v30, vcc, -v19, v17, -v19
	v_fma_f32 v31, -v18, v23, 1.0
	v_fmac_f32_e32 v23, v31, v23
	v_mul_f32_e32 v31, v30, v23
	v_fma_f32 v33, -v18, v31, v30
	v_fmac_f32_e32 v31, v33, v23
	v_fma_f32 v18, -v18, v31, v30
	v_div_fmas_f32 v18, v18, v23, v31
	v_div_fixup_f32 v17, v18, v17, -v19
	v_fma_f32 v18, v17, v17, 1.0
	v_mul_f32_e32 v23, 0x4f800000, v18
	v_cmp_gt_f32_e32 vcc, s54, v18
	v_cndmask_b32_e32 v18, v18, v23, vcc
	v_sqrt_f32_e32 v23, v18
	v_add_u32_e32 v30, -1, v23
	v_fma_f32 v31, -v30, v23, v18
	v_cmp_ge_f32_e64 s[4:5], 0, v31
	v_add_u32_e32 v31, 1, v23
	v_cndmask_b32_e64 v30, v23, v30, s[4:5]
	v_fma_f32 v23, -v31, v23, v18
	v_cmp_lt_f32_e64 s[4:5], 0, v23
	v_cndmask_b32_e64 v23, v30, v31, s[4:5]
	v_mul_f32_e32 v30, 0x37800000, v23
	v_cndmask_b32_e32 v23, v23, v30, vcc
	v_cmp_class_f32_e32 vcc, v18, v41
	v_cndmask_b32_e32 v18, v23, v18, vcc
	v_div_scale_f32 v23, s[4:5], v18, v18, 1.0
	v_rcp_f32_e32 v30, v23
	v_fma_f32 v31, -v23, v30, 1.0
	v_fmac_f32_e32 v30, v31, v30
	v_div_scale_f32 v31, vcc, 1.0, v18, 1.0
	v_mul_f32_e32 v33, v31, v30
	v_fma_f32 v34, -v23, v33, v31
	v_fmac_f32_e32 v33, v34, v30
	v_fma_f32 v23, -v23, v33, v31
	v_div_fmas_f32 v23, v23, v30, v33
	v_div_fixup_f32 v23, v23, v18, 1.0
	v_mul_f32_e32 v31, v17, v23
                                        ; implicit-def: $vgpr17
.LBB58_168:                             ;   in Loop: Header=BB58_148 Depth=2
	s_andn2_saveexec_b64 s[74:75], s[74:75]
	s_cbranch_execz .LBB58_170
; %bb.169:                              ;   in Loop: Header=BB58_148 Depth=2
	v_div_scale_f32 v18, s[4:5], v19, v19, -v17
	v_rcp_f32_e32 v23, v18
	v_div_scale_f32 v30, vcc, -v17, v19, -v17
	v_fma_f32 v31, -v18, v23, 1.0
	v_fmac_f32_e32 v23, v31, v23
	v_mul_f32_e32 v31, v30, v23
	v_fma_f32 v33, -v18, v31, v30
	v_fmac_f32_e32 v31, v33, v23
	v_fma_f32 v18, -v18, v31, v30
	v_div_fmas_f32 v18, v18, v23, v31
	v_div_fixup_f32 v17, v18, v19, -v17
	v_fma_f32 v18, v17, v17, 1.0
	v_mul_f32_e32 v23, 0x4f800000, v18
	v_cmp_gt_f32_e32 vcc, s54, v18
	v_cndmask_b32_e32 v18, v18, v23, vcc
	v_sqrt_f32_e32 v23, v18
	v_add_u32_e32 v30, -1, v23
	v_fma_f32 v31, -v30, v23, v18
	v_cmp_ge_f32_e64 s[4:5], 0, v31
	v_add_u32_e32 v31, 1, v23
	v_cndmask_b32_e64 v30, v23, v30, s[4:5]
	v_fma_f32 v23, -v31, v23, v18
	v_cmp_lt_f32_e64 s[4:5], 0, v23
	v_cndmask_b32_e64 v23, v30, v31, s[4:5]
	v_mul_f32_e32 v30, 0x37800000, v23
	v_cndmask_b32_e32 v23, v23, v30, vcc
	v_cmp_class_f32_e32 vcc, v18, v41
	v_cndmask_b32_e32 v18, v23, v18, vcc
	v_div_scale_f32 v23, s[4:5], v18, v18, 1.0
	v_rcp_f32_e32 v30, v23
	v_fma_f32 v31, -v23, v30, 1.0
	v_fmac_f32_e32 v30, v31, v30
	v_div_scale_f32 v31, vcc, 1.0, v18, 1.0
	v_mul_f32_e32 v33, v31, v30
	v_fma_f32 v34, -v23, v33, v31
	v_fmac_f32_e32 v33, v34, v30
	v_fma_f32 v23, -v23, v33, v31
	v_div_fmas_f32 v23, v23, v30, v33
	v_div_fixup_f32 v31, v23, v18, 1.0
	v_mul_f32_e32 v23, v17, v31
.LBB58_170:                             ;   in Loop: Header=BB58_148 Depth=2
	s_or_b64 exec, exec, s[74:75]
.LBB58_171:                             ;   in Loop: Header=BB58_148 Depth=2
	s_or_b64 exec, exec, s[72:73]
.LBB58_172:                             ;   in Loop: Header=BB58_148 Depth=2
	s_or_b64 exec, exec, s[70:71]
	global_load_dword v17, v[26:27], off offset:4
	v_mov_b32_e32 v33, s93
	v_add_co_u32_e32 v28, vcc, s92, v28
	v_addc_co_u32_e32 v29, vcc, v33, v29, vcc
	v_add_f32_e32 v30, v23, v23
	v_mov_b32_e32 v35, s53
	v_add_co_u32_e32 v36, vcc, s52, v28
	v_add_u32_e32 v18, 1, v22
	v_addc_co_u32_e32 v37, vcc, v29, v35, vcc
	v_xor_b32_e32 v34, 0x80000000, v31
	v_cmp_lt_i32_e32 vcc, v18, v16
	s_waitcnt vmcnt(0)
	v_sub_f32_e32 v17, v17, v32
	v_mul_f32_e32 v17, v31, v17
	v_fma_f32 v17, v19, v30, -v17
	v_mul_f32_e64 v30, v17, -v31
	v_fma_f32 v31, v17, -v31, v32
	v_fma_f32 v17, v23, v17, -v19
	ds_write_b32 v38, v30 offset:8
	global_store_dword v[26:27], v31, off
	global_store_dword v[28:29], v23, off
	global_store_dword v[36:37], v34, off offset:-4
	s_and_saveexec_b64 s[70:71], vcc
	s_cbranch_execz .LBB58_188
; %bb.173:                              ;   in Loop: Header=BB58_148 Depth=2
	v_ashrrev_i32_e32 v19, 31, v18
	v_lshlrev_b64 v[28:29], 2, v[18:19]
	v_mov_b32_e32 v19, s93
	v_add_co_u32_e32 v18, vcc, s92, v28
	v_addc_co_u32_e32 v19, vcc, v19, v29, vcc
	v_mov_b32_e32 v27, s47
	v_add_co_u32_e32 v26, vcc, s46, v28
	v_addc_co_u32_e32 v27, vcc, v27, v29, vcc
	;; [unrolled: 3-line block ×3, first 2 shown]
	s_mov_b32 s41, 1
	s_mov_b64 s[72:73], 0
	s_branch .LBB58_175
.LBB58_174:                             ;   in Loop: Header=BB58_175 Depth=3
	global_load_dwordx2 v[36:37], v[28:29], off
	v_add_co_u32_e32 v26, vcc, 4, v26
	v_addc_co_u32_e32 v27, vcc, 0, v27, vcc
	v_add_co_u32_e32 v44, vcc, 4, v28
	v_addc_co_u32_e32 v45, vcc, 0, v29, vcc
	v_mul_f32_e32 v17, v23, v31
	v_mov_b32_e32 v31, s62
	s_add_i32 s41, s41, 1
	v_add_co_u32_e32 v46, vcc, s11, v18
	v_addc_co_u32_e32 v47, vcc, v19, v31, vcc
	v_add_u32_e32 v31, s41, v22
	v_cmp_ge_i32_e32 vcc, v31, v16
	v_add_f32_e32 v23, v33, v33
	v_xor_b32_e32 v34, 0x80000000, v35
	s_or_b64 s[72:73], vcc, s[72:73]
	s_waitcnt vmcnt(0)
	v_sub_f32_e32 v31, v36, v30
	v_sub_f32_e32 v30, v37, v31
	v_mul_f32_e32 v30, v35, v30
	v_fma_f32 v23, v17, v23, -v30
	v_fma_f32 v31, v23, -v35, v31
	global_store_dword v[28:29], v31, off
	global_store_dword v[18:19], v33, off
	;; [unrolled: 1-line block ×3, first 2 shown]
	v_add_co_u32_e32 v18, vcc, 4, v18
	v_mul_f32_e64 v30, v23, -v35
	v_fma_f32 v17, v33, v23, -v17
	v_addc_co_u32_e32 v19, vcc, 0, v19, vcc
	v_pk_mov_b32 v[28:29], v[44:45], v[44:45] op_sel:[0,1]
	v_mov_b32_e32 v23, v33
	s_andn2_b64 exec, exec, s[72:73]
	s_cbranch_execz .LBB58_187
.LBB58_175:                             ;   Parent Loop BB58_7 Depth=1
                                        ;     Parent Loop BB58_148 Depth=2
                                        ; =>    This Inner Loop Header: Depth=3
	global_load_dword v31, v[26:27], off offset:4
	v_mov_b32_e32 v33, 1.0
	v_mov_b32_e32 v35, 0
	s_waitcnt vmcnt(0)
	v_mul_f32_e32 v32, v34, v31
	v_cmp_neq_f32_e32 vcc, 0, v32
	s_and_saveexec_b64 s[74:75], vcc
	s_cbranch_execz .LBB58_185
; %bb.176:                              ;   in Loop: Header=BB58_175 Depth=3
	v_cmp_neq_f32_e32 vcc, 0, v17
                                        ; implicit-def: $vgpr35
                                        ; implicit-def: $vgpr33
	s_and_saveexec_b64 s[4:5], vcc
	s_xor_b64 s[76:77], exec, s[4:5]
	s_cbranch_execz .LBB58_182
; %bb.177:                              ;   in Loop: Header=BB58_175 Depth=3
	v_cmp_ngt_f32_e64 s[4:5], |v32|, |v17|
                                        ; implicit-def: $vgpr35
                                        ; implicit-def: $vgpr33
	s_and_saveexec_b64 s[78:79], s[4:5]
	s_xor_b64 s[78:79], exec, s[78:79]
	s_cbranch_execz .LBB58_179
; %bb.178:                              ;   in Loop: Header=BB58_175 Depth=3
	v_div_scale_f32 v33, s[4:5], v17, v17, -v32
	v_rcp_f32_e32 v34, v33
	v_div_scale_f32 v35, vcc, -v32, v17, -v32
	v_fma_f32 v36, -v33, v34, 1.0
	v_fmac_f32_e32 v34, v36, v34
	v_mul_f32_e32 v36, v35, v34
	v_fma_f32 v37, -v33, v36, v35
	v_fmac_f32_e32 v36, v37, v34
	v_fma_f32 v33, -v33, v36, v35
	v_div_fmas_f32 v33, v33, v34, v36
	v_div_fixup_f32 v34, v33, v17, -v32
	v_fma_f32 v33, v34, v34, 1.0
	v_mul_f32_e32 v35, 0x4f800000, v33
	v_cmp_gt_f32_e32 vcc, s54, v33
	v_cndmask_b32_e32 v33, v33, v35, vcc
	v_sqrt_f32_e32 v35, v33
	v_add_u32_e32 v36, -1, v35
	v_fma_f32 v37, -v36, v35, v33
	v_cmp_ge_f32_e64 s[4:5], 0, v37
	v_add_u32_e32 v37, 1, v35
	v_cndmask_b32_e64 v36, v35, v36, s[4:5]
	v_fma_f32 v35, -v37, v35, v33
	v_cmp_lt_f32_e64 s[4:5], 0, v35
	v_cndmask_b32_e64 v35, v36, v37, s[4:5]
	v_mul_f32_e32 v36, 0x37800000, v35
	v_cndmask_b32_e32 v35, v35, v36, vcc
	v_cmp_class_f32_e32 vcc, v33, v41
	v_cndmask_b32_e32 v33, v35, v33, vcc
	v_div_scale_f32 v35, s[4:5], v33, v33, 1.0
	v_rcp_f32_e32 v36, v35
	v_fma_f32 v37, -v35, v36, 1.0
	v_fmac_f32_e32 v36, v37, v36
	v_div_scale_f32 v37, vcc, 1.0, v33, 1.0
	v_mul_f32_e32 v44, v37, v36
	v_fma_f32 v45, -v35, v44, v37
	v_fmac_f32_e32 v44, v45, v36
	v_fma_f32 v35, -v35, v44, v37
	v_div_fmas_f32 v35, v35, v36, v44
	v_div_fixup_f32 v33, v35, v33, 1.0
	v_mul_f32_e32 v35, v34, v33
.LBB58_179:                             ;   in Loop: Header=BB58_175 Depth=3
	s_andn2_saveexec_b64 s[78:79], s[78:79]
	s_cbranch_execz .LBB58_181
; %bb.180:                              ;   in Loop: Header=BB58_175 Depth=3
	v_div_scale_f32 v33, s[4:5], v32, v32, -v17
	v_rcp_f32_e32 v34, v33
	v_div_scale_f32 v35, vcc, -v17, v32, -v17
	v_fma_f32 v36, -v33, v34, 1.0
	v_fmac_f32_e32 v34, v36, v34
	v_mul_f32_e32 v36, v35, v34
	v_fma_f32 v37, -v33, v36, v35
	v_fmac_f32_e32 v36, v37, v34
	v_fma_f32 v33, -v33, v36, v35
	v_div_fmas_f32 v33, v33, v34, v36
	v_div_fixup_f32 v33, v33, v32, -v17
	v_fma_f32 v34, v33, v33, 1.0
	v_mul_f32_e32 v35, 0x4f800000, v34
	v_cmp_gt_f32_e32 vcc, s54, v34
	v_cndmask_b32_e32 v34, v34, v35, vcc
	v_sqrt_f32_e32 v35, v34
	v_add_u32_e32 v36, -1, v35
	v_fma_f32 v37, -v36, v35, v34
	v_cmp_ge_f32_e64 s[4:5], 0, v37
	v_add_u32_e32 v37, 1, v35
	v_cndmask_b32_e64 v36, v35, v36, s[4:5]
	v_fma_f32 v35, -v37, v35, v34
	v_cmp_lt_f32_e64 s[4:5], 0, v35
	v_cndmask_b32_e64 v35, v36, v37, s[4:5]
	v_mul_f32_e32 v36, 0x37800000, v35
	v_cndmask_b32_e32 v35, v35, v36, vcc
	v_cmp_class_f32_e32 vcc, v34, v41
	v_cndmask_b32_e32 v34, v35, v34, vcc
	v_div_scale_f32 v35, s[4:5], v34, v34, 1.0
	v_rcp_f32_e32 v36, v35
	v_fma_f32 v37, -v35, v36, 1.0
	v_fmac_f32_e32 v36, v37, v36
	v_div_scale_f32 v37, vcc, 1.0, v34, 1.0
	v_mul_f32_e32 v44, v37, v36
	v_fma_f32 v45, -v35, v44, v37
	v_fmac_f32_e32 v44, v45, v36
	v_fma_f32 v35, -v35, v44, v37
	v_div_fmas_f32 v35, v35, v36, v44
	v_div_fixup_f32 v35, v35, v34, 1.0
	v_mul_f32_e32 v33, v33, v35
.LBB58_181:                             ;   in Loop: Header=BB58_175 Depth=3
	s_or_b64 exec, exec, s[78:79]
	v_mul_f32_e32 v32, v32, v35
	v_fma_f32 v17, v17, v33, -v32
                                        ; implicit-def: $vgpr32
.LBB58_182:                             ;   in Loop: Header=BB58_175 Depth=3
	s_andn2_saveexec_b64 s[4:5], s[76:77]
; %bb.183:                              ;   in Loop: Header=BB58_175 Depth=3
	v_xor_b32_e32 v17, 0x80000000, v32
	v_mov_b32_e32 v35, 1.0
	v_mov_b32_e32 v33, 0
; %bb.184:                              ;   in Loop: Header=BB58_175 Depth=3
	s_or_b64 exec, exec, s[4:5]
.LBB58_185:                             ;   in Loop: Header=BB58_175 Depth=3
	s_or_b64 exec, exec, s[74:75]
	s_cmp_eq_u32 s41, 0
	s_cbranch_scc1 .LBB58_174
; %bb.186:                              ;   in Loop: Header=BB58_175 Depth=3
	global_store_dword v[26:27], v17, off
	s_branch .LBB58_174
.LBB58_187:                             ;   in Loop: Header=BB58_148 Depth=2
	s_or_b64 exec, exec, s[72:73]
	ds_write_b32 v38, v30 offset:8
.LBB58_188:                             ;   in Loop: Header=BB58_148 Depth=2
	s_or_b64 exec, exec, s[70:71]
	global_load_dword v31, v[20:21], off
.LBB58_189:                             ;   in Loop: Header=BB58_148 Depth=2
	s_or_b64 exec, exec, s[6:7]
	s_waitcnt vmcnt(0)
	v_sub_f32_e32 v16, v31, v30
	global_store_dword v[20:21], v16, off
	global_store_dword v[24:25], v17, off
                                        ; implicit-def: $vgpr20_vgpr21
                                        ; implicit-def: $vgpr24_vgpr25
                                        ; implicit-def: $vgpr16
                                        ; implicit-def: $vgpr31
                                        ; implicit-def: $vgpr22
.LBB58_190:                             ;   in Loop: Header=BB58_148 Depth=2
	s_andn2_saveexec_b64 s[68:69], s[68:69]
	s_cbranch_execz .LBB58_223
; %bb.191:                              ;   in Loop: Header=BB58_148 Depth=2
	v_ashrrev_i32_e32 v23, 31, v22
	v_lshlrev_b64 v[18:19], 2, v[22:23]
	v_mov_b32_e32 v17, s23
	v_add_co_u32_e32 v22, vcc, s22, v18
	v_addc_co_u32_e32 v23, vcc, v17, v19, vcc
	v_mov_b32_e32 v17, s33
	v_add_co_u32_e32 v26, vcc, s14, v18
	v_addc_co_u32_e32 v27, vcc, v17, v19, vcc
	global_load_dword v22, v[22:23], off
	s_nop 0
	global_load_dword v28, v[26:27], off
                                        ; implicit-def: $vgpr26
	s_waitcnt vmcnt(1)
	v_sub_f32_e32 v27, v22, v31
	s_waitcnt vmcnt(0)
	v_add_f32_e32 v17, v28, v28
	v_and_b32_e32 v23, 0x7fffffff, v17
	v_cmp_ngt_f32_e64 s[4:5], |v27|, |v17|
	s_and_saveexec_b64 s[6:7], s[4:5]
	s_xor_b64 s[6:7], exec, s[6:7]
	s_cbranch_execz .LBB58_197
; %bb.192:                              ;   in Loop: Header=BB58_148 Depth=2
	v_cmp_nlt_f32_e64 s[4:5], |v27|, |v17|
                                        ; implicit-def: $vgpr26
	s_and_saveexec_b64 s[70:71], s[4:5]
	s_xor_b64 s[4:5], exec, s[70:71]
; %bb.193:                              ;   in Loop: Header=BB58_148 Depth=2
	v_cvt_f64_f32_e32 v[32:33], v23
	v_mul_f64 v[32:33], v[32:33], s[82:83]
	v_cvt_f32_f64_e32 v26, v[32:33]
                                        ; implicit-def: $vgpr23
; %bb.194:                              ;   in Loop: Header=BB58_148 Depth=2
	s_andn2_saveexec_b64 s[70:71], s[4:5]
	s_cbranch_execz .LBB58_196
; %bb.195:                              ;   in Loop: Header=BB58_148 Depth=2
	v_and_b32_e32 v26, 0x7fffffff, v27
	v_div_scale_f32 v29, s[4:5], v23, v23, v26
	v_rcp_f32_e32 v30, v29
	v_div_scale_f32 v23, vcc, v26, v23, v26
	v_fma_f32 v26, -v29, v30, 1.0
	v_fmac_f32_e32 v30, v26, v30
	v_mul_f32_e32 v26, v23, v30
	v_fma_f32 v32, -v29, v26, v23
	v_fmac_f32_e32 v26, v32, v30
	v_fma_f32 v23, -v29, v26, v23
	v_div_fmas_f32 v23, v23, v30, v26
	v_div_fixup_f32 v23, v23, |v17|, |v27|
	v_fma_f32 v23, v23, v23, 1.0
	v_mul_f32_e32 v26, 0x4f800000, v23
	v_cmp_gt_f32_e32 vcc, s54, v23
	v_cndmask_b32_e32 v23, v23, v26, vcc
	v_sqrt_f32_e32 v26, v23
	v_add_u32_e32 v29, -1, v26
	v_fma_f32 v30, -v29, v26, v23
	v_cmp_ge_f32_e64 s[4:5], 0, v30
	v_add_u32_e32 v30, 1, v26
	v_cndmask_b32_e64 v29, v26, v29, s[4:5]
	v_fma_f32 v26, -v30, v26, v23
	v_cmp_lt_f32_e64 s[4:5], 0, v26
	v_cndmask_b32_e64 v26, v29, v30, s[4:5]
	v_mul_f32_e32 v29, 0x37800000, v26
	v_cndmask_b32_e32 v26, v26, v29, vcc
	v_cmp_class_f32_e32 vcc, v23, v41
	v_cndmask_b32_e32 v23, v26, v23, vcc
	v_mul_f32_e64 v26, |v17|, v23
.LBB58_196:                             ;   in Loop: Header=BB58_148 Depth=2
	s_or_b64 exec, exec, s[70:71]
                                        ; implicit-def: $vgpr23
.LBB58_197:                             ;   in Loop: Header=BB58_148 Depth=2
	s_andn2_saveexec_b64 s[6:7], s[6:7]
	s_cbranch_execz .LBB58_199
; %bb.198:                              ;   in Loop: Header=BB58_148 Depth=2
	v_and_b32_e32 v26, 0x7fffffff, v27
	v_div_scale_f32 v29, s[4:5], v26, v26, v23
	v_rcp_f32_e32 v30, v29
	v_div_scale_f32 v23, vcc, v23, v26, v23
	v_fma_f32 v26, -v29, v30, 1.0
	v_fmac_f32_e32 v30, v26, v30
	v_mul_f32_e32 v26, v23, v30
	v_fma_f32 v32, -v29, v26, v23
	v_fmac_f32_e32 v26, v32, v30
	v_fma_f32 v23, -v29, v26, v23
	v_div_fmas_f32 v23, v23, v30, v26
	v_div_fixup_f32 v23, v23, |v27|, |v17|
	v_fma_f32 v23, v23, v23, 1.0
	v_mul_f32_e32 v26, 0x4f800000, v23
	v_cmp_gt_f32_e32 vcc, s54, v23
	v_cndmask_b32_e32 v23, v23, v26, vcc
	v_sqrt_f32_e32 v26, v23
	v_add_u32_e32 v29, -1, v26
	v_fma_f32 v30, -v29, v26, v23
	v_cmp_ge_f32_e64 s[4:5], 0, v30
	v_add_u32_e32 v30, 1, v26
	v_cndmask_b32_e64 v29, v26, v29, s[4:5]
	v_fma_f32 v26, -v30, v26, v23
	v_cmp_lt_f32_e64 s[4:5], 0, v26
	v_cndmask_b32_e64 v26, v29, v30, s[4:5]
	v_mul_f32_e32 v29, 0x37800000, v26
	v_cndmask_b32_e32 v26, v26, v29, vcc
	v_cmp_class_f32_e32 vcc, v23, v41
	v_cndmask_b32_e32 v23, v26, v23, vcc
	v_mul_f32_e64 v26, |v27|, v23
.LBB58_199:                             ;   in Loop: Header=BB58_148 Depth=2
	s_or_b64 exec, exec, s[6:7]
	v_add_f32_e32 v32, v31, v22
	v_cmp_gt_f32_e64 vcc, |v22|, |v31|
	v_cndmask_b32_e32 v30, v22, v31, vcc
	v_cndmask_b32_e32 v31, v31, v22, vcc
	v_cmp_ngt_f32_e32 vcc, 0, v32
                                        ; implicit-def: $vgpr29
                                        ; implicit-def: $vgpr22_vgpr23
	s_and_saveexec_b64 s[4:5], vcc
	s_xor_b64 s[4:5], exec, s[4:5]
	s_cbranch_execz .LBB58_205
; %bb.200:                              ;   in Loop: Header=BB58_148 Depth=2
	v_cmp_nlt_f32_e32 vcc, 0, v32
                                        ; implicit-def: $sgpr41
                                        ; implicit-def: $vgpr22_vgpr23
	s_and_saveexec_b64 s[6:7], vcc
	s_xor_b64 s[6:7], exec, s[6:7]
; %bb.201:                              ;   in Loop: Header=BB58_148 Depth=2
	v_pk_mul_f32 v[22:23], v[26:27], s[84:85] op_sel_hi:[0,1]
	s_mov_b32 s41, 1
                                        ; implicit-def: $vgpr32
                                        ; implicit-def: $vgpr31
                                        ; implicit-def: $vgpr30
                                        ; implicit-def: $vgpr28
; %bb.202:                              ;   in Loop: Header=BB58_148 Depth=2
	s_or_saveexec_b64 s[6:7], s[6:7]
	v_mov_b32_e32 v29, s41
	s_xor_b64 exec, exec, s[6:7]
	s_cbranch_execz .LBB58_204
; %bb.203:                              ;   in Loop: Header=BB58_148 Depth=2
	v_add_f32_e32 v22, v32, v26
	v_mul_f32_e32 v22, 0.5, v22
	v_cvt_f64_f32_e32 v[32:33], v31
	v_cvt_f64_f32_e32 v[34:35], v22
	v_div_scale_f64 v[36:37], s[70:71], v[34:35], v[34:35], v[32:33]
	v_rcp_f64_e32 v[44:45], v[36:37]
	v_cvt_f64_f32_e32 v[28:29], v28
	v_cvt_f64_f32_e32 v[30:31], v30
	v_fma_f64 v[46:47], -v[36:37], v[44:45], 1.0
	v_fmac_f64_e32 v[44:45], v[44:45], v[46:47]
	v_fma_f64 v[46:47], -v[36:37], v[44:45], 1.0
	v_fmac_f64_e32 v[44:45], v[44:45], v[46:47]
	v_div_scale_f64 v[46:47], vcc, v[32:33], v[34:35], v[32:33]
	v_mul_f64 v[48:49], v[46:47], v[44:45]
	v_fma_f64 v[36:37], -v[36:37], v[48:49], v[46:47]
	v_div_scale_f64 v[46:47], s[70:71], v[34:35], v[34:35], v[28:29]
	v_rcp_f64_e32 v[50:51], v[46:47]
	v_div_fmas_f64 v[36:37], v[36:37], v[44:45], v[48:49]
	v_div_fixup_f64 v[32:33], v[36:37], v[34:35], v[32:33]
	v_fma_f64 v[36:37], -v[46:47], v[50:51], 1.0
	v_fmac_f64_e32 v[50:51], v[50:51], v[36:37]
	v_fma_f64 v[36:37], -v[46:47], v[50:51], 1.0
	v_fmac_f64_e32 v[50:51], v[50:51], v[36:37]
	v_div_scale_f64 v[36:37], vcc, v[28:29], v[34:35], v[28:29]
	v_mul_f64 v[44:45], v[36:37], v[50:51]
	v_fma_f64 v[36:37], -v[46:47], v[44:45], v[36:37]
	s_nop 1
	v_div_fmas_f64 v[36:37], v[36:37], v[50:51], v[44:45]
	v_div_fixup_f64 v[34:35], v[36:37], v[34:35], v[28:29]
	v_mul_f64 v[28:29], v[34:35], v[28:29]
	v_fma_f64 v[28:29], v[32:33], v[30:31], -v[28:29]
	v_cvt_f32_f64_e32 v23, v[28:29]
	v_mov_b32_e32 v29, 1
.LBB58_204:                             ;   in Loop: Header=BB58_148 Depth=2
	s_or_b64 exec, exec, s[6:7]
                                        ; implicit-def: $vgpr32
                                        ; implicit-def: $vgpr31
                                        ; implicit-def: $vgpr30
                                        ; implicit-def: $vgpr28
.LBB58_205:                             ;   in Loop: Header=BB58_148 Depth=2
	s_andn2_saveexec_b64 s[4:5], s[4:5]
	s_cbranch_execz .LBB58_207
; %bb.206:                              ;   in Loop: Header=BB58_148 Depth=2
	v_sub_f32_e32 v22, v32, v26
	v_mul_f32_e32 v22, 0.5, v22
	v_cvt_f64_f32_e32 v[32:33], v31
	v_cvt_f64_f32_e32 v[34:35], v22
	v_div_scale_f64 v[36:37], s[6:7], v[34:35], v[34:35], v[32:33]
	v_rcp_f64_e32 v[44:45], v[36:37]
	v_cvt_f64_f32_e32 v[28:29], v28
	v_cvt_f64_f32_e32 v[30:31], v30
	v_fma_f64 v[46:47], -v[36:37], v[44:45], 1.0
	v_fmac_f64_e32 v[44:45], v[44:45], v[46:47]
	v_fma_f64 v[46:47], -v[36:37], v[44:45], 1.0
	v_fmac_f64_e32 v[44:45], v[44:45], v[46:47]
	v_div_scale_f64 v[46:47], vcc, v[32:33], v[34:35], v[32:33]
	v_mul_f64 v[48:49], v[46:47], v[44:45]
	v_fma_f64 v[36:37], -v[36:37], v[48:49], v[46:47]
	v_div_scale_f64 v[46:47], s[6:7], v[34:35], v[34:35], v[28:29]
	v_rcp_f64_e32 v[50:51], v[46:47]
	v_div_fmas_f64 v[36:37], v[36:37], v[44:45], v[48:49]
	v_div_fixup_f64 v[32:33], v[36:37], v[34:35], v[32:33]
	v_fma_f64 v[36:37], -v[46:47], v[50:51], 1.0
	v_fmac_f64_e32 v[50:51], v[50:51], v[36:37]
	v_fma_f64 v[36:37], -v[46:47], v[50:51], 1.0
	v_fmac_f64_e32 v[50:51], v[50:51], v[36:37]
	v_div_scale_f64 v[36:37], vcc, v[28:29], v[34:35], v[28:29]
	v_mul_f64 v[44:45], v[36:37], v[50:51]
	v_fma_f64 v[36:37], -v[46:47], v[44:45], v[36:37]
	s_nop 1
	v_div_fmas_f64 v[36:37], v[36:37], v[50:51], v[44:45]
	v_div_fixup_f64 v[34:35], v[36:37], v[34:35], v[28:29]
	v_mul_f64 v[28:29], v[34:35], v[28:29]
	v_fma_f64 v[28:29], v[32:33], v[30:31], -v[28:29]
	v_cvt_f32_f64_e32 v23, v[28:29]
	v_mov_b32_e32 v29, -1
.LBB58_207:                             ;   in Loop: Header=BB58_148 Depth=2
	s_or_b64 exec, exec, s[4:5]
	v_cmp_nle_f32_e64 s[4:5], 0, v27
	v_cndmask_b32_e64 v26, v26, -v26, s[4:5]
	v_add_f32_e32 v26, v27, v26
	v_cmp_ngt_f32_e64 s[6:7], |v26|, |v17|
                                        ; implicit-def: $vgpr27
                                        ; implicit-def: $vgpr28
	s_and_saveexec_b64 s[70:71], s[6:7]
	s_xor_b64 s[70:71], exec, s[70:71]
	s_cbranch_execz .LBB58_211
; %bb.208:                              ;   in Loop: Header=BB58_148 Depth=2
	v_cmp_neq_f32_e32 vcc, 0, v17
	v_mov_b32_e32 v27, 0
	v_mov_b32_e32 v28, 1.0
	s_and_saveexec_b64 s[72:73], vcc
	s_cbranch_execz .LBB58_210
; %bb.209:                              ;   in Loop: Header=BB58_148 Depth=2
	v_div_scale_f32 v27, s[6:7], v17, v17, -v26
	v_rcp_f32_e32 v28, v27
	v_div_scale_f32 v30, vcc, -v26, v17, -v26
	v_fma_f32 v31, -v27, v28, 1.0
	v_fmac_f32_e32 v28, v31, v28
	v_mul_f32_e32 v31, v30, v28
	v_fma_f32 v32, -v27, v31, v30
	v_fmac_f32_e32 v31, v32, v28
	v_fma_f32 v27, -v27, v31, v30
	v_div_fmas_f32 v27, v27, v28, v31
	v_div_fixup_f32 v17, v27, v17, -v26
	v_fma_f32 v26, v17, v17, 1.0
	v_mul_f32_e32 v27, 0x4f800000, v26
	v_cmp_gt_f32_e32 vcc, s54, v26
	v_cndmask_b32_e32 v26, v26, v27, vcc
	v_sqrt_f32_e32 v27, v26
	v_add_u32_e32 v28, -1, v27
	v_fma_f32 v30, -v28, v27, v26
	v_cmp_ge_f32_e64 s[6:7], 0, v30
	v_add_u32_e32 v30, 1, v27
	v_cndmask_b32_e64 v28, v27, v28, s[6:7]
	v_fma_f32 v27, -v30, v27, v26
	v_cmp_lt_f32_e64 s[6:7], 0, v27
	v_cndmask_b32_e64 v27, v28, v30, s[6:7]
	v_mul_f32_e32 v28, 0x37800000, v27
	v_cndmask_b32_e32 v27, v27, v28, vcc
	v_cmp_class_f32_e32 vcc, v26, v41
	v_cndmask_b32_e32 v26, v27, v26, vcc
	v_div_scale_f32 v27, s[6:7], v26, v26, 1.0
	v_rcp_f32_e32 v28, v27
	v_fma_f32 v30, -v27, v28, 1.0
	v_fmac_f32_e32 v28, v30, v28
	v_div_scale_f32 v30, vcc, 1.0, v26, 1.0
	v_mul_f32_e32 v31, v30, v28
	v_fma_f32 v32, -v27, v31, v30
	v_fmac_f32_e32 v31, v32, v28
	v_fma_f32 v27, -v27, v31, v30
	v_div_fmas_f32 v27, v27, v28, v31
	v_div_fixup_f32 v28, v27, v26, 1.0
	v_mul_f32_e32 v27, v17, v28
.LBB58_210:                             ;   in Loop: Header=BB58_148 Depth=2
	s_or_b64 exec, exec, s[72:73]
                                        ; implicit-def: $vgpr26
                                        ; implicit-def: $vgpr17
.LBB58_211:                             ;   in Loop: Header=BB58_148 Depth=2
	s_andn2_saveexec_b64 s[70:71], s[70:71]
	s_cbranch_execz .LBB58_213
; %bb.212:                              ;   in Loop: Header=BB58_148 Depth=2
	v_div_scale_f32 v27, s[6:7], v26, v26, -v17
	v_rcp_f32_e32 v28, v27
	v_div_scale_f32 v30, vcc, -v17, v26, -v17
	v_fma_f32 v31, -v27, v28, 1.0
	v_fmac_f32_e32 v28, v31, v28
	v_mul_f32_e32 v31, v30, v28
	v_fma_f32 v32, -v27, v31, v30
	v_fmac_f32_e32 v31, v32, v28
	v_fma_f32 v27, -v27, v31, v30
	v_div_fmas_f32 v27, v27, v28, v31
	v_div_fixup_f32 v17, v27, v26, -v17
	v_fma_f32 v26, v17, v17, 1.0
	v_mul_f32_e32 v27, 0x4f800000, v26
	v_cmp_gt_f32_e32 vcc, s54, v26
	v_cndmask_b32_e32 v26, v26, v27, vcc
	v_sqrt_f32_e32 v27, v26
	v_add_u32_e32 v28, -1, v27
	v_fma_f32 v30, -v28, v27, v26
	v_cmp_ge_f32_e64 s[6:7], 0, v30
	v_add_u32_e32 v30, 1, v27
	v_cndmask_b32_e64 v28, v27, v28, s[6:7]
	v_fma_f32 v27, -v30, v27, v26
	v_cmp_lt_f32_e64 s[6:7], 0, v27
	v_cndmask_b32_e64 v27, v28, v30, s[6:7]
	v_mul_f32_e32 v28, 0x37800000, v27
	v_cndmask_b32_e32 v27, v27, v28, vcc
	v_cmp_class_f32_e32 vcc, v26, v41
	v_cndmask_b32_e32 v26, v27, v26, vcc
	v_div_scale_f32 v27, s[6:7], v26, v26, 1.0
	v_rcp_f32_e32 v28, v27
	v_fma_f32 v30, -v27, v28, 1.0
	v_fmac_f32_e32 v28, v30, v28
	v_div_scale_f32 v30, vcc, 1.0, v26, 1.0
	v_mul_f32_e32 v31, v30, v28
	v_fma_f32 v32, -v27, v31, v30
	v_fmac_f32_e32 v31, v32, v28
	v_fma_f32 v27, -v27, v31, v30
	v_div_fmas_f32 v27, v27, v28, v31
	v_div_fixup_f32 v27, v27, v26, 1.0
	v_mul_f32_e32 v28, v17, v27
.LBB58_213:                             ;   in Loop: Header=BB58_148 Depth=2
	s_or_b64 exec, exec, s[70:71]
	v_cndmask_b32_e64 v17, 1, -1, s[4:5]
	v_cmp_eq_u32_e32 vcc, v29, v17
	v_cndmask_b32_e64 v17, v28, -v27, vcc
	v_cndmask_b32_e32 v26, v27, v28, vcc
	v_mov_b32_e32 v27, s93
	v_add_co_u32_e32 v18, vcc, s92, v18
	v_addc_co_u32_e32 v19, vcc, v27, v19, vcc
	global_store_dword v[18:19], v17, off
	v_mov_b32_e32 v17, s53
	v_add_co_u32_e32 v18, vcc, s52, v18
	v_addc_co_u32_e32 v19, vcc, v19, v17, vcc
	global_store_dword v[18:19], v26, off offset:-4
	global_store_dwordx2 v[20:21], v[22:23], off offset:-4
	v_mov_b32_e32 v17, s47
	v_add_co_u32_e32 v18, vcc, s46, v24
	v_addc_co_u32_e32 v19, vcc, v17, v25, vcc
	v_add_u32_e32 v16, -2, v16
	global_store_dword v[18:19], v38, off
	ds_write_b32 v38, v16
	s_or_b64 exec, exec, s[68:69]
                                        ; implicit-def: $vgpr17
.LBB58_214:                             ;   in Loop: Header=BB58_148 Depth=2
	s_andn2_saveexec_b64 s[4:5], s[66:67]
	s_cbranch_execz .LBB58_216
.LBB58_215:                             ;   in Loop: Header=BB58_148 Depth=2
	ds_write_b32 v38, v17
.LBB58_216:                             ;   in Loop: Header=BB58_148 Depth=2
	s_or_b64 exec, exec, s[4:5]
.LBB58_217:                             ;   in Loop: Header=BB58_148 Depth=2
	s_or_b64 exec, exec, s[8:9]
	s_waitcnt lgkmcnt(0)
	s_barrier
	ds_read_b64 v[16:17], v38
	s_waitcnt lgkmcnt(0)
	v_readfirstlane_b32 s6, v17
	v_cmp_eq_u32_e32 vcc, s6, v16
	v_mov_b32_e32 v16, s6
	s_cbranch_vccnz .LBB58_147
; %bb.218:                              ;   in Loop: Header=BB58_148 Depth=2
	s_and_saveexec_b64 s[4:5], s[2:3]
	s_cbranch_execz .LBB58_146
; %bb.219:                              ;   in Loop: Header=BB58_148 Depth=2
	ds_read_b32 v16, v38 offset:16
	s_ashr_i32 s7, s6, 31
	s_lshl_b64 s[66:67], s[6:7], 2
	s_mul_i32 s8, s6, s15
	v_mov_b32_e32 v18, v0
	s_waitcnt lgkmcnt(0)
	v_readfirstlane_b32 s7, v16
	s_sub_i32 s41, s7, s6
	s_add_u32 s6, s92, s66
	s_addc_u32 s7, s93, s67
	s_ashr_i32 s9, s8, 31
	s_lshl_b64 s[66:67], s[8:9], 3
	s_add_u32 s60, s90, s66
	s_addc_u32 s70, s91, s67
	s_cmp_gt_i32 s41, 0
	s_mul_hi_i32 s69, s41, s44
	s_mul_i32 s68, s41, s44
	s_cselect_b64 s[8:9], -1, 0
	s_lshl_b64 s[68:69], s[68:69], 3
	s_add_u32 s71, s60, s68
	v_mov_b32_e32 v17, s67
	v_add_co_u32_e32 v16, vcc, s66, v1
	s_addc_u32 s72, s70, s69
	v_addc_co_u32_e32 v17, vcc, v40, v17, vcc
	s_mov_b64 s[66:67], 0
	s_branch .LBB58_221
.LBB58_220:                             ;   in Loop: Header=BB58_221 Depth=3
	v_mov_b32_e32 v19, s72
	v_add_co_u32_e32 v20, vcc, s71, v20
	v_addc_co_u32_e32 v21, vcc, v19, v21, vcc
	v_add_u32_e32 v18, s34, v18
	v_cmp_le_i32_e32 vcc, s10, v18
	v_mov_b32_e32 v19, s59
	s_or_b64 s[66:67], vcc, s[66:67]
	v_add_co_u32_e32 v16, vcc, s58, v16
	v_addc_co_u32_e32 v17, vcc, v17, v19, vcc
	s_waitcnt vmcnt(0)
	global_store_dwordx2 v[20:21], v[22:23], off
	s_andn2_b64 exec, exec, s[66:67]
	s_cbranch_execz .LBB58_146
.LBB58_221:                             ;   Parent Loop BB58_7 Depth=1
                                        ;     Parent Loop BB58_148 Depth=2
                                        ; =>    This Loop Header: Depth=3
                                        ;         Child Loop BB58_222 Depth 4
	v_ashrrev_i32_e32 v19, 31, v18
	v_lshlrev_b64 v[20:21], 3, v[18:19]
	v_mov_b32_e32 v19, s70
	v_add_co_u32_e32 v22, vcc, s60, v20
	v_addc_co_u32_e32 v23, vcc, v19, v21, vcc
	global_load_dwordx2 v[22:23], v[22:23], off
	s_andn2_b64 vcc, exec, s[8:9]
	s_mov_b64 s[68:69], s[6:7]
	v_pk_mov_b32 v[24:25], v[16:17], v[16:17] op_sel:[0,1]
	s_mov_b32 s73, s41
	s_cbranch_vccnz .LBB58_220
.LBB58_222:                             ;   Parent Loop BB58_7 Depth=1
                                        ;     Parent Loop BB58_148 Depth=2
                                        ;       Parent Loop BB58_221 Depth=3
                                        ; =>      This Inner Loop Header: Depth=4
	s_add_u32 s74, s68, s11
	s_addc_u32 s75, s69, s62
	v_mov_b32_e32 v19, s57
	v_add_co_u32_e32 v28, vcc, s56, v24
	global_load_dword v26, v38, s[74:75]
	v_addc_co_u32_e32 v29, vcc, v25, v19, vcc
	global_load_dwordx2 v[30:31], v[28:29], off
	global_load_dword v32, v38, s[68:69]
	s_add_i32 s73, s73, -1
	s_add_u32 s68, s68, 4
	s_addc_u32 s69, s69, 0
	s_cmp_eq_u32 s73, 0
	s_waitcnt vmcnt(1)
	v_mul_f32_e32 v34, v26, v30
	v_mul_f32_e32 v35, v26, v31
	v_pk_mul_f32 v[26:27], v[22:23], v[26:27] op_sel_hi:[1,0]
	s_waitcnt vmcnt(0)
	v_fmac_f32_e32 v34, v22, v32
	v_fmac_f32_e32 v35, v23, v32
	v_pk_fma_f32 v[22:23], v[32:33], v[30:31], v[26:27] op_sel_hi:[0,1,1] neg_lo:[0,0,1] neg_hi:[0,0,1]
	global_store_dwordx2 v[24:25], v[34:35], off
	v_pk_mov_b32 v[24:25], v[28:29], v[28:29] op_sel:[0,1]
	s_cbranch_scc0 .LBB58_222
	s_branch .LBB58_220
.LBB58_223:                             ;   in Loop: Header=BB58_148 Depth=2
	s_or_b64 exec, exec, s[68:69]
                                        ; implicit-def: $vgpr17
	s_andn2_saveexec_b64 s[4:5], s[66:67]
	s_cbranch_execnz .LBB58_215
	s_branch .LBB58_216
.LBB58_224:
	v_cmp_gt_i32_e32 vcc, s40, v0
	s_and_saveexec_b64 s[2:3], vcc
	s_cbranch_execz .LBB58_230
; %bb.225:
	s_lshl_b64 s[4:5], s[38:39], 2
	s_add_u32 s4, s18, s4
	s_addc_u32 s5, s19, s5
	s_lshl_b64 s[6:7], s[42:43], 2
	v_ashrrev_i32_e32 v1, 31, v0
	s_add_u32 s6, s24, s6
	v_lshlrev_b64 v[2:3], 2, v[0:1]
	s_addc_u32 s7, s25, s7
	s_ashr_i32 s35, s34, 31
	v_mov_b32_e32 v1, s7
	v_add_co_u32_e32 v2, vcc, s6, v2
	s_lshl_b64 s[6:7], s[34:35], 2
	v_addc_co_u32_e32 v3, vcc, v1, v3, vcc
	s_mov_b64 s[8:9], 0
	v_mov_b32_e32 v1, 0
	v_mov_b32_e32 v4, s7
	s_branch .LBB58_227
.LBB58_226:                             ;   in Loop: Header=BB58_227 Depth=1
	s_or_b64 exec, exec, s[18:19]
	v_add_u32_e32 v0, s34, v0
	v_cmp_le_i32_e32 vcc, s40, v0
	s_or_b64 s[8:9], vcc, s[8:9]
	v_add_co_u32_e32 v2, vcc, s6, v2
	v_addc_co_u32_e32 v3, vcc, v3, v4, vcc
	s_andn2_b64 exec, exec, s[8:9]
	s_cbranch_execz .LBB58_230
.LBB58_227:                             ; =>This Inner Loop Header: Depth=1
	global_load_dword v5, v[2:3], off
	s_waitcnt vmcnt(0)
	v_cmp_neq_f32_e32 vcc, 0, v5
	s_and_saveexec_b64 s[18:19], vcc
	s_cbranch_execz .LBB58_226
; %bb.228:                              ;   in Loop: Header=BB58_227 Depth=1
	s_mov_b64 s[24:25], exec
	v_mbcnt_lo_u32_b32 v5, s24, 0
	v_mbcnt_hi_u32_b32 v5, s25, v5
	v_cmp_eq_u32_e32 vcc, 0, v5
	s_and_b64 s[28:29], exec, vcc
	s_mov_b64 exec, s[28:29]
	s_cbranch_execz .LBB58_226
; %bb.229:                              ;   in Loop: Header=BB58_227 Depth=1
	s_bcnt1_i32_b64 s7, s[24:25]
	v_mov_b32_e32 v5, s7
	global_atomic_add v1, v5, s[4:5]
	s_branch .LBB58_226
.LBB58_230:
	s_or_b64 exec, exec, s[2:3]
	s_cmp_lt_i32 s10, 2
	s_cbranch_scc1 .LBB58_243
; %bb.231:
	s_add_u32 s11, s22, -4
	s_addc_u32 s14, s23, -1
	s_add_u32 s2, s36, s20
	s_addc_u32 s3, s37, s21
	s_add_u32 s2, s2, 4
	s_addc_u32 s3, s3, 0
	s_lshl_b64 s[4:5], s[16:17], 3
	s_lshl_b64 s[6:7], s[26:27], 3
	s_add_u32 s4, s4, s6
	s_addc_u32 s5, s5, s7
	s_add_u32 s18, s12, s4
	s_addc_u32 s19, s13, s5
	s_mov_b32 s4, 1
	v_mov_b32_e32 v0, 0
	s_branch .LBB58_233
.LBB58_232:                             ;   in Loop: Header=BB58_233 Depth=1
	s_add_i32 s4, s4, 1
	s_add_u32 s2, s2, 4
	s_addc_u32 s3, s3, 0
	s_cmp_lg_u32 s4, s10
	s_barrier
	s_cbranch_scc0 .LBB58_243
.LBB58_233:                             ; =>This Loop Header: Depth=1
                                        ;     Child Loop BB58_236 Depth 2
                                        ;     Child Loop BB58_242 Depth 2
	s_and_saveexec_b64 s[6:7], s[0:1]
	s_cbranch_execz .LBB58_240
; %bb.234:                              ;   in Loop: Header=BB58_233 Depth=1
	s_ashr_i32 s5, s4, 31
	s_add_i32 s13, s4, -1
	s_lshl_b64 s[8:9], s[4:5], 2
	s_add_u32 s8, s11, s8
	s_addc_u32 s9, s14, s9
	global_load_dword v1, v0, s[8:9]
	v_mov_b32_e32 v2, s13
	v_mov_b32_e32 v3, s13
	s_mov_b64 s[16:17], s[2:3]
	s_mov_b32 s5, s4
	s_mov_b32 s12, s13
	ds_write_b64 v0, v[2:3]
	s_waitcnt vmcnt(0)
	ds_write_b32 v0, v1 offset:8
	v_mov_b32_e32 v2, v1
	s_branch .LBB58_236
.LBB58_235:                             ;   in Loop: Header=BB58_236 Depth=2
	s_add_i32 s5, s5, 1
	s_add_u32 s16, s16, 4
	s_addc_u32 s17, s17, 0
	s_cmp_ge_i32 s5, s10
	s_cbranch_scc1 .LBB58_238
.LBB58_236:                             ;   Parent Loop BB58_233 Depth=1
                                        ; =>  This Inner Loop Header: Depth=2
	global_load_dword v3, v0, s[16:17]
	s_waitcnt vmcnt(0)
	v_cmp_nlt_f32_e32 vcc, v3, v2
	s_cbranch_vccnz .LBB58_235
; %bb.237:                              ;   in Loop: Header=BB58_236 Depth=2
	v_mov_b32_e32 v2, s5
	ds_write2_b32 v0, v2, v3 offset0:1 offset1:2
	s_mov_b32 s12, s5
	v_mov_b32_e32 v2, v3
	s_branch .LBB58_235
.LBB58_238:                             ;   in Loop: Header=BB58_233 Depth=1
	s_cmp_lg_u32 s12, s13
	s_cbranch_scc0 .LBB58_240
; %bb.239:                              ;   in Loop: Header=BB58_233 Depth=1
	s_ashr_i32 s13, s12, 31
	s_lshl_b64 s[12:13], s[12:13], 2
	s_add_u32 s12, s22, s12
	s_addc_u32 s13, s23, s13
	global_store_dword v0, v1, s[12:13]
	global_store_dword v0, v2, s[8:9]
.LBB58_240:                             ;   in Loop: Header=BB58_233 Depth=1
	s_or_b64 exec, exec, s[6:7]
	s_waitcnt lgkmcnt(0)
	s_barrier
	ds_read_b64 v[2:3], v0
	s_waitcnt lgkmcnt(0)
	v_readfirstlane_b32 s5, v2
	v_readfirstlane_b32 s6, v3
	s_cmp_eq_u32 s6, s5
	s_cbranch_scc1 .LBB58_232
; %bb.241:                              ;   in Loop: Header=BB58_233 Depth=1
	s_mul_i32 s6, s6, s15
	s_ashr_i32 s7, s6, 31
	s_lshl_b64 s[6:7], s[6:7], 3
	s_mul_i32 s8, s5, s15
	s_add_u32 s6, s18, s6
	s_addc_u32 s7, s19, s7
	s_ashr_i32 s9, s8, 31
	s_lshl_b64 s[8:9], s[8:9], 3
	s_add_u32 s8, s18, s8
	s_addc_u32 s9, s19, s9
	s_mov_b32 s5, s10
.LBB58_242:                             ;   Parent Loop BB58_233 Depth=1
                                        ; =>  This Inner Loop Header: Depth=2
	global_load_dwordx2 v[2:3], v0, s[6:7]
	global_load_dwordx2 v[4:5], v0, s[8:9]
	s_add_i32 s5, s5, -1
	s_waitcnt vmcnt(1)
	global_store_dwordx2 v0, v[2:3], s[8:9]
	s_waitcnt vmcnt(1)
	global_store_dwordx2 v0, v[4:5], s[6:7]
	s_add_u32 s6, s6, 8
	s_addc_u32 s7, s7, 0
	s_add_u32 s8, s8, 8
	s_addc_u32 s9, s9, 0
	s_cmp_lg_u32 s5, 0
	s_cbranch_scc1 .LBB58_242
	s_branch .LBB58_232
.LBB58_243:
	s_endpgm
	.section	.rodata,"a",@progbits
	.p2align	6, 0x0
	.amdhsa_kernel _ZN9rocsolver6v33100L12steqr_kernelI19rocblas_complex_numIfEfPS3_EEviPT0_lS6_lT1_iilPiS6_iS5_S5_S5_
		.amdhsa_group_segment_fixed_size 36
		.amdhsa_private_segment_fixed_size 0
		.amdhsa_kernarg_size 352
		.amdhsa_user_sgpr_count 6
		.amdhsa_user_sgpr_private_segment_buffer 1
		.amdhsa_user_sgpr_dispatch_ptr 0
		.amdhsa_user_sgpr_queue_ptr 0
		.amdhsa_user_sgpr_kernarg_segment_ptr 1
		.amdhsa_user_sgpr_dispatch_id 0
		.amdhsa_user_sgpr_flat_scratch_init 0
		.amdhsa_user_sgpr_kernarg_preload_length 0
		.amdhsa_user_sgpr_kernarg_preload_offset 0
		.amdhsa_user_sgpr_private_segment_size 0
		.amdhsa_uses_dynamic_stack 0
		.amdhsa_system_sgpr_private_segment_wavefront_offset 0
		.amdhsa_system_sgpr_workgroup_id_x 1
		.amdhsa_system_sgpr_workgroup_id_y 1
		.amdhsa_system_sgpr_workgroup_id_z 0
		.amdhsa_system_sgpr_workgroup_info 0
		.amdhsa_system_vgpr_workitem_id 0
		.amdhsa_next_free_vgpr 63
		.amdhsa_next_free_sgpr 96
		.amdhsa_accum_offset 64
		.amdhsa_reserve_vcc 1
		.amdhsa_reserve_flat_scratch 0
		.amdhsa_float_round_mode_32 0
		.amdhsa_float_round_mode_16_64 0
		.amdhsa_float_denorm_mode_32 3
		.amdhsa_float_denorm_mode_16_64 3
		.amdhsa_dx10_clamp 1
		.amdhsa_ieee_mode 1
		.amdhsa_fp16_overflow 0
		.amdhsa_tg_split 0
		.amdhsa_exception_fp_ieee_invalid_op 0
		.amdhsa_exception_fp_denorm_src 0
		.amdhsa_exception_fp_ieee_div_zero 0
		.amdhsa_exception_fp_ieee_overflow 0
		.amdhsa_exception_fp_ieee_underflow 0
		.amdhsa_exception_fp_ieee_inexact 0
		.amdhsa_exception_int_div_zero 0
	.end_amdhsa_kernel
	.section	.text._ZN9rocsolver6v33100L12steqr_kernelI19rocblas_complex_numIfEfPS3_EEviPT0_lS6_lT1_iilPiS6_iS5_S5_S5_,"axG",@progbits,_ZN9rocsolver6v33100L12steqr_kernelI19rocblas_complex_numIfEfPS3_EEviPT0_lS6_lT1_iilPiS6_iS5_S5_S5_,comdat
.Lfunc_end58:
	.size	_ZN9rocsolver6v33100L12steqr_kernelI19rocblas_complex_numIfEfPS3_EEviPT0_lS6_lT1_iilPiS6_iS5_S5_S5_, .Lfunc_end58-_ZN9rocsolver6v33100L12steqr_kernelI19rocblas_complex_numIfEfPS3_EEviPT0_lS6_lT1_iilPiS6_iS5_S5_S5_
                                        ; -- End function
	.section	.AMDGPU.csdata,"",@progbits
; Kernel info:
; codeLenInByte = 13040
; NumSgprs: 100
; NumVgprs: 63
; NumAgprs: 0
; TotalNumVgprs: 63
; ScratchSize: 0
; MemoryBound: 0
; FloatMode: 240
; IeeeMode: 1
; LDSByteSize: 36 bytes/workgroup (compile time only)
; SGPRBlocks: 12
; VGPRBlocks: 7
; NumSGPRsForWavesPerEU: 100
; NumVGPRsForWavesPerEU: 63
; AccumOffset: 64
; Occupancy: 8
; WaveLimiterHint : 0
; COMPUTE_PGM_RSRC2:SCRATCH_EN: 0
; COMPUTE_PGM_RSRC2:USER_SGPR: 6
; COMPUTE_PGM_RSRC2:TRAP_HANDLER: 0
; COMPUTE_PGM_RSRC2:TGID_X_EN: 1
; COMPUTE_PGM_RSRC2:TGID_Y_EN: 1
; COMPUTE_PGM_RSRC2:TGID_Z_EN: 0
; COMPUTE_PGM_RSRC2:TIDIG_COMP_CNT: 0
; COMPUTE_PGM_RSRC3_GFX90A:ACCUM_OFFSET: 15
; COMPUTE_PGM_RSRC3_GFX90A:TG_SPLIT: 0
	.section	.text._ZN9rocsolver6v33100L8copy_matI19rocblas_complex_numIfEfLb0EPS3_TnNSt9enable_ifIX18rocblas_is_complexIT_EEiE4typeELi0EEEvNS0_17copymat_directionEiiT2_iilPT0_13rocblas_fill_17rocblas_diagonal_,"axG",@progbits,_ZN9rocsolver6v33100L8copy_matI19rocblas_complex_numIfEfLb0EPS3_TnNSt9enable_ifIX18rocblas_is_complexIT_EEiE4typeELi0EEEvNS0_17copymat_directionEiiT2_iilPT0_13rocblas_fill_17rocblas_diagonal_,comdat
	.globl	_ZN9rocsolver6v33100L8copy_matI19rocblas_complex_numIfEfLb0EPS3_TnNSt9enable_ifIX18rocblas_is_complexIT_EEiE4typeELi0EEEvNS0_17copymat_directionEiiT2_iilPT0_13rocblas_fill_17rocblas_diagonal_ ; -- Begin function _ZN9rocsolver6v33100L8copy_matI19rocblas_complex_numIfEfLb0EPS3_TnNSt9enable_ifIX18rocblas_is_complexIT_EEiE4typeELi0EEEvNS0_17copymat_directionEiiT2_iilPT0_13rocblas_fill_17rocblas_diagonal_
	.p2align	8
	.type	_ZN9rocsolver6v33100L8copy_matI19rocblas_complex_numIfEfLb0EPS3_TnNSt9enable_ifIX18rocblas_is_complexIT_EEiE4typeELi0EEEvNS0_17copymat_directionEiiT2_iilPT0_13rocblas_fill_17rocblas_diagonal_,@function
_ZN9rocsolver6v33100L8copy_matI19rocblas_complex_numIfEfLb0EPS3_TnNSt9enable_ifIX18rocblas_is_complexIT_EEiE4typeELi0EEEvNS0_17copymat_directionEiiT2_iilPT0_13rocblas_fill_17rocblas_diagonal_: ; @_ZN9rocsolver6v33100L8copy_matI19rocblas_complex_numIfEfLb0EPS3_TnNSt9enable_ifIX18rocblas_is_complexIT_EEiE4typeELi0EEEvNS0_17copymat_directionEiiT2_iilPT0_13rocblas_fill_17rocblas_diagonal_
; %bb.0:
	s_load_dwordx4 s[12:15], s[4:5], 0x0
	s_load_dword s0, s[4:5], 0x44
	v_bfe_u32 v1, v0, 10, 10
	v_and_b32_e32 v0, 0x3ff, v0
	s_waitcnt lgkmcnt(0)
	s_lshr_b32 s1, s0, 16
	s_and_b32 s0, s0, 0xffff
	s_mul_i32 s7, s7, s1
	s_mul_i32 s6, s6, s0
	v_add_u32_e32 v1, s7, v1
	v_add_u32_e32 v0, s6, v0
	v_cmp_gt_u32_e32 vcc, s13, v0
	v_cmp_gt_u32_e64 s[0:1], s14, v1
	s_and_b64 s[0:1], s[0:1], vcc
	s_and_saveexec_b64 s[2:3], s[0:1]
	s_cbranch_execz .LBB59_16
; %bb.1:
	s_load_dwordx2 s[2:3], s[4:5], 0x30
	s_mov_b32 s9, s13
	s_waitcnt lgkmcnt(0)
	s_cmpk_lt_i32 s2, 0x7a
	s_cbranch_scc1 .LBB59_4
; %bb.2:
	s_cmpk_gt_i32 s2, 0x7a
	s_cbranch_scc0 .LBB59_5
; %bb.3:
	s_cmpk_lg_i32 s2, 0x7b
	s_mov_b64 s[6:7], -1
	s_cselect_b64 s[10:11], -1, 0
	s_cbranch_execz .LBB59_6
	s_branch .LBB59_7
.LBB59_4:
	s_mov_b64 s[10:11], 0
	s_mov_b64 s[6:7], 0
	s_cbranch_execnz .LBB59_8
	s_branch .LBB59_10
.LBB59_5:
	s_mov_b64 s[6:7], 0
	s_mov_b64 s[10:11], 0
.LBB59_6:
	v_cmp_gt_u32_e32 vcc, v0, v1
	v_cmp_le_u32_e64 s[0:1], v0, v1
	s_andn2_b64 s[6:7], s[6:7], exec
	s_and_b64 s[16:17], vcc, exec
	s_andn2_b64 s[10:11], s[10:11], exec
	s_and_b64 s[0:1], s[0:1], exec
	s_or_b64 s[6:7], s[6:7], s[16:17]
	s_or_b64 s[10:11], s[10:11], s[0:1]
.LBB59_7:
	s_branch .LBB59_10
.LBB59_8:
	s_cmpk_eq_i32 s2, 0x79
	s_mov_b64 s[10:11], -1
	s_cbranch_scc0 .LBB59_10
; %bb.9:
	v_cmp_gt_u32_e32 vcc, v1, v0
	v_cmp_le_u32_e64 s[0:1], v1, v0
	s_andn2_b64 s[6:7], s[6:7], exec
	s_and_b64 s[10:11], vcc, exec
	s_or_b64 s[6:7], s[6:7], s[10:11]
	s_orn2_b64 s[10:11], s[0:1], exec
.LBB59_10:
	s_and_saveexec_b64 s[0:1], s[10:11]
; %bb.11:
	s_cmpk_eq_i32 s3, 0x83
	s_cselect_b64 s[2:3], -1, 0
	v_cmp_eq_u32_e32 vcc, v0, v1
	s_and_b64 s[2:3], s[2:3], vcc
	s_andn2_b64 s[6:7], s[6:7], exec
	s_and_b64 s[2:3], s[2:3], exec
	s_or_b64 s[6:7], s[6:7], s[2:3]
; %bb.12:
	s_or_b64 exec, exec, s[0:1]
	s_and_b64 exec, exec, s[6:7]
	s_cbranch_execz .LBB59_16
; %bb.13:
	s_load_dwordx8 s[16:23], s[4:5], 0x10
	s_ashr_i32 s4, s13, 31
	s_ashr_i32 s5, s14, 31
	s_mul_i32 s4, s4, s8
	s_waitcnt lgkmcnt(0)
	s_mul_i32 s2, s8, s21
	s_mul_hi_u32 s3, s8, s20
	s_add_i32 s3, s3, s2
	s_mul_i32 s2, s8, s20
	s_ashr_i32 s1, s18, 31
	s_lshl_b64 s[2:3], s[2:3], 3
	s_mov_b32 s0, s18
	s_add_u32 s2, s16, s2
	s_addc_u32 s3, s17, s3
	s_lshl_b64 s[0:1], s[0:1], 3
	s_add_u32 s2, s2, s0
	s_mul_hi_u32 s0, s13, s8
	s_addc_u32 s3, s3, s1
	s_add_i32 s0, s0, s4
	s_mul_i32 s4, s13, s8
	s_mul_i32 s1, s4, s5
	s_mul_hi_u32 s5, s4, s14
	s_add_i32 s1, s5, s1
	s_mul_i32 s0, s0, s14
	s_add_i32 s1, s1, s0
	s_mul_i32 s0, s4, s14
	s_lshl_b64 s[0:1], s[0:1], 2
	s_add_u32 s4, s22, s0
	s_addc_u32 s5, s23, s1
	v_mad_u64_u32 v[4:5], s[0:1], v1, s19, v[0:1]
	v_mov_b32_e32 v5, 0
	s_cmp_lg_u32 s12, 0
	v_lshlrev_b64 v[2:3], 3, v[4:5]
	s_cbranch_scc0 .LBB59_17
; %bb.14:
	v_mad_u64_u32 v[6:7], s[0:1], v1, s9, v[0:1]
	v_mov_b32_e32 v7, v5
	v_lshlrev_b64 v[4:5], 2, v[6:7]
	v_mov_b32_e32 v6, s5
	v_add_co_u32_e32 v4, vcc, s4, v4
	v_addc_co_u32_e32 v5, vcc, v6, v5, vcc
	global_load_dword v6, v[4:5], off
	v_mov_b32_e32 v5, s3
	v_add_co_u32_e32 v4, vcc, s2, v2
	v_addc_co_u32_e32 v5, vcc, v5, v3, vcc
	s_waitcnt vmcnt(0)
	global_store_dword v[4:5], v6, off offset:4
	s_cbranch_execnz .LBB59_16
.LBB59_15:
	v_mov_b32_e32 v4, s3
	v_add_co_u32_e32 v2, vcc, s2, v2
	v_addc_co_u32_e32 v3, vcc, v4, v3, vcc
	global_load_dword v2, v[2:3], off offset:4
	v_mad_u64_u32 v[0:1], s[0:1], v1, s9, v[0:1]
	v_mov_b32_e32 v1, 0
	v_lshlrev_b64 v[0:1], 2, v[0:1]
	v_mov_b32_e32 v3, s5
	v_add_co_u32_e32 v0, vcc, s4, v0
	v_addc_co_u32_e32 v1, vcc, v3, v1, vcc
	s_waitcnt vmcnt(0)
	global_store_dword v[0:1], v2, off
.LBB59_16:
	s_endpgm
.LBB59_17:
	s_branch .LBB59_15
	.section	.rodata,"a",@progbits
	.p2align	6, 0x0
	.amdhsa_kernel _ZN9rocsolver6v33100L8copy_matI19rocblas_complex_numIfEfLb0EPS3_TnNSt9enable_ifIX18rocblas_is_complexIT_EEiE4typeELi0EEEvNS0_17copymat_directionEiiT2_iilPT0_13rocblas_fill_17rocblas_diagonal_
		.amdhsa_group_segment_fixed_size 0
		.amdhsa_private_segment_fixed_size 0
		.amdhsa_kernarg_size 312
		.amdhsa_user_sgpr_count 6
		.amdhsa_user_sgpr_private_segment_buffer 1
		.amdhsa_user_sgpr_dispatch_ptr 0
		.amdhsa_user_sgpr_queue_ptr 0
		.amdhsa_user_sgpr_kernarg_segment_ptr 1
		.amdhsa_user_sgpr_dispatch_id 0
		.amdhsa_user_sgpr_flat_scratch_init 0
		.amdhsa_user_sgpr_kernarg_preload_length 0
		.amdhsa_user_sgpr_kernarg_preload_offset 0
		.amdhsa_user_sgpr_private_segment_size 0
		.amdhsa_uses_dynamic_stack 0
		.amdhsa_system_sgpr_private_segment_wavefront_offset 0
		.amdhsa_system_sgpr_workgroup_id_x 1
		.amdhsa_system_sgpr_workgroup_id_y 1
		.amdhsa_system_sgpr_workgroup_id_z 1
		.amdhsa_system_sgpr_workgroup_info 0
		.amdhsa_system_vgpr_workitem_id 1
		.amdhsa_next_free_vgpr 8
		.amdhsa_next_free_sgpr 24
		.amdhsa_accum_offset 8
		.amdhsa_reserve_vcc 1
		.amdhsa_reserve_flat_scratch 0
		.amdhsa_float_round_mode_32 0
		.amdhsa_float_round_mode_16_64 0
		.amdhsa_float_denorm_mode_32 3
		.amdhsa_float_denorm_mode_16_64 3
		.amdhsa_dx10_clamp 1
		.amdhsa_ieee_mode 1
		.amdhsa_fp16_overflow 0
		.amdhsa_tg_split 0
		.amdhsa_exception_fp_ieee_invalid_op 0
		.amdhsa_exception_fp_denorm_src 0
		.amdhsa_exception_fp_ieee_div_zero 0
		.amdhsa_exception_fp_ieee_overflow 0
		.amdhsa_exception_fp_ieee_underflow 0
		.amdhsa_exception_fp_ieee_inexact 0
		.amdhsa_exception_int_div_zero 0
	.end_amdhsa_kernel
	.section	.text._ZN9rocsolver6v33100L8copy_matI19rocblas_complex_numIfEfLb0EPS3_TnNSt9enable_ifIX18rocblas_is_complexIT_EEiE4typeELi0EEEvNS0_17copymat_directionEiiT2_iilPT0_13rocblas_fill_17rocblas_diagonal_,"axG",@progbits,_ZN9rocsolver6v33100L8copy_matI19rocblas_complex_numIfEfLb0EPS3_TnNSt9enable_ifIX18rocblas_is_complexIT_EEiE4typeELi0EEEvNS0_17copymat_directionEiiT2_iilPT0_13rocblas_fill_17rocblas_diagonal_,comdat
.Lfunc_end59:
	.size	_ZN9rocsolver6v33100L8copy_matI19rocblas_complex_numIfEfLb0EPS3_TnNSt9enable_ifIX18rocblas_is_complexIT_EEiE4typeELi0EEEvNS0_17copymat_directionEiiT2_iilPT0_13rocblas_fill_17rocblas_diagonal_, .Lfunc_end59-_ZN9rocsolver6v33100L8copy_matI19rocblas_complex_numIfEfLb0EPS3_TnNSt9enable_ifIX18rocblas_is_complexIT_EEiE4typeELi0EEEvNS0_17copymat_directionEiiT2_iilPT0_13rocblas_fill_17rocblas_diagonal_
                                        ; -- End function
	.section	.AMDGPU.csdata,"",@progbits
; Kernel info:
; codeLenInByte = 576
; NumSgprs: 28
; NumVgprs: 8
; NumAgprs: 0
; TotalNumVgprs: 8
; ScratchSize: 0
; MemoryBound: 0
; FloatMode: 240
; IeeeMode: 1
; LDSByteSize: 0 bytes/workgroup (compile time only)
; SGPRBlocks: 3
; VGPRBlocks: 0
; NumSGPRsForWavesPerEU: 28
; NumVGPRsForWavesPerEU: 8
; AccumOffset: 8
; Occupancy: 8
; WaveLimiterHint : 0
; COMPUTE_PGM_RSRC2:SCRATCH_EN: 0
; COMPUTE_PGM_RSRC2:USER_SGPR: 6
; COMPUTE_PGM_RSRC2:TRAP_HANDLER: 0
; COMPUTE_PGM_RSRC2:TGID_X_EN: 1
; COMPUTE_PGM_RSRC2:TGID_Y_EN: 1
; COMPUTE_PGM_RSRC2:TGID_Z_EN: 1
; COMPUTE_PGM_RSRC2:TIDIG_COMP_CNT: 1
; COMPUTE_PGM_RSRC3_GFX90A:ACCUM_OFFSET: 1
; COMPUTE_PGM_RSRC3_GFX90A:TG_SPLIT: 0
	.section	.text._ZN9rocsolver6v33100L8set_zeroI19rocblas_complex_numIfEPS3_EEviiT0_iil13rocblas_fill_,"axG",@progbits,_ZN9rocsolver6v33100L8set_zeroI19rocblas_complex_numIfEPS3_EEviiT0_iil13rocblas_fill_,comdat
	.globl	_ZN9rocsolver6v33100L8set_zeroI19rocblas_complex_numIfEPS3_EEviiT0_iil13rocblas_fill_ ; -- Begin function _ZN9rocsolver6v33100L8set_zeroI19rocblas_complex_numIfEPS3_EEviiT0_iil13rocblas_fill_
	.p2align	8
	.type	_ZN9rocsolver6v33100L8set_zeroI19rocblas_complex_numIfEPS3_EEviiT0_iil13rocblas_fill_,@function
_ZN9rocsolver6v33100L8set_zeroI19rocblas_complex_numIfEPS3_EEviiT0_iil13rocblas_fill_: ; @_ZN9rocsolver6v33100L8set_zeroI19rocblas_complex_numIfEPS3_EEviiT0_iil13rocblas_fill_
; %bb.0:
	s_load_dword s2, s[4:5], 0x34
	s_load_dwordx2 s[0:1], s[4:5], 0x0
	v_and_b32_e32 v1, 0x3ff, v0
	v_bfe_u32 v0, v0, 10, 10
	s_waitcnt lgkmcnt(0)
	s_lshr_b32 s3, s2, 16
	s_and_b32 s2, s2, 0xffff
	s_mul_i32 s6, s6, s2
	s_mul_i32 s7, s7, s3
	v_add_u32_e32 v2, s6, v1
	v_add_u32_e32 v0, s7, v0
	v_cmp_gt_u32_e32 vcc, s0, v2
	v_cmp_gt_u32_e64 s[0:1], s1, v0
	s_and_b64 s[0:1], vcc, s[0:1]
	s_and_saveexec_b64 s[2:3], s[0:1]
	s_cbranch_execz .LBB60_12
; %bb.1:
	s_load_dword s6, s[4:5], 0x20
	s_waitcnt lgkmcnt(0)
	s_cmpk_lt_i32 s6, 0x7a
	s_cbranch_scc1 .LBB60_4
; %bb.2:
	s_cmpk_gt_i32 s6, 0x7a
	s_cbranch_scc0 .LBB60_5
; %bb.3:
	s_cmpk_eq_i32 s6, 0x7b
	s_cselect_b64 s[0:1], -1, 0
	s_cbranch_execz .LBB60_6
	s_branch .LBB60_7
.LBB60_4:
	s_mov_b64 s[0:1], 0
	s_cbranch_execnz .LBB60_8
	s_branch .LBB60_10
.LBB60_5:
	s_mov_b64 s[0:1], 0
.LBB60_6:
	v_cmp_gt_u32_e32 vcc, v0, v2
	s_andn2_b64 s[0:1], s[0:1], exec
	s_and_b64 s[2:3], vcc, exec
	s_or_b64 s[0:1], s[0:1], s[2:3]
.LBB60_7:
	s_branch .LBB60_10
.LBB60_8:
	s_cmpk_eq_i32 s6, 0x79
	s_cbranch_scc0 .LBB60_10
; %bb.9:
	v_cmp_gt_u32_e32 vcc, v2, v0
	s_andn2_b64 s[0:1], s[0:1], exec
	s_and_b64 s[2:3], vcc, exec
	s_or_b64 s[0:1], s[0:1], s[2:3]
.LBB60_10:
	s_and_b64 exec, exec, s[0:1]
	s_cbranch_execz .LBB60_12
; %bb.11:
	s_load_dwordx4 s[0:3], s[4:5], 0x8
	s_load_dwordx2 s[6:7], s[4:5], 0x18
	s_waitcnt lgkmcnt(0)
	s_ashr_i32 s5, s2, 31
	s_mov_b32 s4, s2
	s_mul_i32 s2, s8, s7
	s_mul_hi_u32 s7, s8, s6
	s_add_i32 s7, s7, s2
	s_mul_i32 s6, s8, s6
	s_lshl_b64 s[6:7], s[6:7], 3
	s_add_u32 s2, s0, s6
	s_addc_u32 s6, s1, s7
	s_lshl_b64 s[0:1], s[4:5], 3
	s_add_u32 s2, s2, s0
	s_addc_u32 s4, s6, s1
	v_mad_u64_u32 v[0:1], s[0:1], v0, s3, v[2:3]
	v_mov_b32_e32 v1, 0
	v_lshlrev_b64 v[2:3], 3, v[0:1]
	v_mov_b32_e32 v0, s4
	v_add_co_u32_e32 v2, vcc, s2, v2
	v_addc_co_u32_e32 v3, vcc, v0, v3, vcc
	v_mov_b32_e32 v0, v1
	global_store_dwordx2 v[2:3], v[0:1], off
.LBB60_12:
	s_endpgm
	.section	.rodata,"a",@progbits
	.p2align	6, 0x0
	.amdhsa_kernel _ZN9rocsolver6v33100L8set_zeroI19rocblas_complex_numIfEPS3_EEviiT0_iil13rocblas_fill_
		.amdhsa_group_segment_fixed_size 0
		.amdhsa_private_segment_fixed_size 0
		.amdhsa_kernarg_size 296
		.amdhsa_user_sgpr_count 6
		.amdhsa_user_sgpr_private_segment_buffer 1
		.amdhsa_user_sgpr_dispatch_ptr 0
		.amdhsa_user_sgpr_queue_ptr 0
		.amdhsa_user_sgpr_kernarg_segment_ptr 1
		.amdhsa_user_sgpr_dispatch_id 0
		.amdhsa_user_sgpr_flat_scratch_init 0
		.amdhsa_user_sgpr_kernarg_preload_length 0
		.amdhsa_user_sgpr_kernarg_preload_offset 0
		.amdhsa_user_sgpr_private_segment_size 0
		.amdhsa_uses_dynamic_stack 0
		.amdhsa_system_sgpr_private_segment_wavefront_offset 0
		.amdhsa_system_sgpr_workgroup_id_x 1
		.amdhsa_system_sgpr_workgroup_id_y 1
		.amdhsa_system_sgpr_workgroup_id_z 1
		.amdhsa_system_sgpr_workgroup_info 0
		.amdhsa_system_vgpr_workitem_id 1
		.amdhsa_next_free_vgpr 4
		.amdhsa_next_free_sgpr 9
		.amdhsa_accum_offset 4
		.amdhsa_reserve_vcc 1
		.amdhsa_reserve_flat_scratch 0
		.amdhsa_float_round_mode_32 0
		.amdhsa_float_round_mode_16_64 0
		.amdhsa_float_denorm_mode_32 3
		.amdhsa_float_denorm_mode_16_64 3
		.amdhsa_dx10_clamp 1
		.amdhsa_ieee_mode 1
		.amdhsa_fp16_overflow 0
		.amdhsa_tg_split 0
		.amdhsa_exception_fp_ieee_invalid_op 0
		.amdhsa_exception_fp_denorm_src 0
		.amdhsa_exception_fp_ieee_div_zero 0
		.amdhsa_exception_fp_ieee_overflow 0
		.amdhsa_exception_fp_ieee_underflow 0
		.amdhsa_exception_fp_ieee_inexact 0
		.amdhsa_exception_int_div_zero 0
	.end_amdhsa_kernel
	.section	.text._ZN9rocsolver6v33100L8set_zeroI19rocblas_complex_numIfEPS3_EEviiT0_iil13rocblas_fill_,"axG",@progbits,_ZN9rocsolver6v33100L8set_zeroI19rocblas_complex_numIfEPS3_EEviiT0_iil13rocblas_fill_,comdat
.Lfunc_end60:
	.size	_ZN9rocsolver6v33100L8set_zeroI19rocblas_complex_numIfEPS3_EEviiT0_iil13rocblas_fill_, .Lfunc_end60-_ZN9rocsolver6v33100L8set_zeroI19rocblas_complex_numIfEPS3_EEviiT0_iil13rocblas_fill_
                                        ; -- End function
	.section	.AMDGPU.csdata,"",@progbits
; Kernel info:
; codeLenInByte = 316
; NumSgprs: 13
; NumVgprs: 4
; NumAgprs: 0
; TotalNumVgprs: 4
; ScratchSize: 0
; MemoryBound: 0
; FloatMode: 240
; IeeeMode: 1
; LDSByteSize: 0 bytes/workgroup (compile time only)
; SGPRBlocks: 1
; VGPRBlocks: 0
; NumSGPRsForWavesPerEU: 13
; NumVGPRsForWavesPerEU: 4
; AccumOffset: 4
; Occupancy: 8
; WaveLimiterHint : 0
; COMPUTE_PGM_RSRC2:SCRATCH_EN: 0
; COMPUTE_PGM_RSRC2:USER_SGPR: 6
; COMPUTE_PGM_RSRC2:TRAP_HANDLER: 0
; COMPUTE_PGM_RSRC2:TGID_X_EN: 1
; COMPUTE_PGM_RSRC2:TGID_Y_EN: 1
; COMPUTE_PGM_RSRC2:TGID_Z_EN: 1
; COMPUTE_PGM_RSRC2:TIDIG_COMP_CNT: 1
; COMPUTE_PGM_RSRC3_GFX90A:ACCUM_OFFSET: 0
; COMPUTE_PGM_RSRC3_GFX90A:TG_SPLIT: 0
	.section	.text._ZN9rocsolver6v33100L8copy_matI19rocblas_complex_numIfEfLb1EPS3_TnNSt9enable_ifIX18rocblas_is_complexIT_EEiE4typeELi0EEEvNS0_17copymat_directionEiiT2_iilPT0_13rocblas_fill_17rocblas_diagonal_,"axG",@progbits,_ZN9rocsolver6v33100L8copy_matI19rocblas_complex_numIfEfLb1EPS3_TnNSt9enable_ifIX18rocblas_is_complexIT_EEiE4typeELi0EEEvNS0_17copymat_directionEiiT2_iilPT0_13rocblas_fill_17rocblas_diagonal_,comdat
	.globl	_ZN9rocsolver6v33100L8copy_matI19rocblas_complex_numIfEfLb1EPS3_TnNSt9enable_ifIX18rocblas_is_complexIT_EEiE4typeELi0EEEvNS0_17copymat_directionEiiT2_iilPT0_13rocblas_fill_17rocblas_diagonal_ ; -- Begin function _ZN9rocsolver6v33100L8copy_matI19rocblas_complex_numIfEfLb1EPS3_TnNSt9enable_ifIX18rocblas_is_complexIT_EEiE4typeELi0EEEvNS0_17copymat_directionEiiT2_iilPT0_13rocblas_fill_17rocblas_diagonal_
	.p2align	8
	.type	_ZN9rocsolver6v33100L8copy_matI19rocblas_complex_numIfEfLb1EPS3_TnNSt9enable_ifIX18rocblas_is_complexIT_EEiE4typeELi0EEEvNS0_17copymat_directionEiiT2_iilPT0_13rocblas_fill_17rocblas_diagonal_,@function
_ZN9rocsolver6v33100L8copy_matI19rocblas_complex_numIfEfLb1EPS3_TnNSt9enable_ifIX18rocblas_is_complexIT_EEiE4typeELi0EEEvNS0_17copymat_directionEiiT2_iilPT0_13rocblas_fill_17rocblas_diagonal_: ; @_ZN9rocsolver6v33100L8copy_matI19rocblas_complex_numIfEfLb1EPS3_TnNSt9enable_ifIX18rocblas_is_complexIT_EEiE4typeELi0EEEvNS0_17copymat_directionEiiT2_iilPT0_13rocblas_fill_17rocblas_diagonal_
; %bb.0:
	s_load_dwordx4 s[12:15], s[4:5], 0x0
	s_load_dword s0, s[4:5], 0x44
	v_bfe_u32 v1, v0, 10, 10
	v_and_b32_e32 v0, 0x3ff, v0
	s_waitcnt lgkmcnt(0)
	s_lshr_b32 s1, s0, 16
	s_and_b32 s0, s0, 0xffff
	s_mul_i32 s7, s7, s1
	s_mul_i32 s6, s6, s0
	v_add_u32_e32 v1, s7, v1
	v_add_u32_e32 v0, s6, v0
	v_cmp_gt_u32_e32 vcc, s13, v0
	v_cmp_gt_u32_e64 s[0:1], s14, v1
	s_and_b64 s[0:1], s[0:1], vcc
	s_and_saveexec_b64 s[2:3], s[0:1]
	s_cbranch_execz .LBB61_16
; %bb.1:
	s_load_dwordx2 s[2:3], s[4:5], 0x30
	s_mov_b32 s9, s13
	s_waitcnt lgkmcnt(0)
	s_cmpk_lt_i32 s2, 0x7a
	s_cbranch_scc1 .LBB61_4
; %bb.2:
	s_cmpk_gt_i32 s2, 0x7a
	s_cbranch_scc0 .LBB61_5
; %bb.3:
	s_cmpk_lg_i32 s2, 0x7b
	s_mov_b64 s[6:7], -1
	s_cselect_b64 s[10:11], -1, 0
	s_cbranch_execz .LBB61_6
	s_branch .LBB61_7
.LBB61_4:
	s_mov_b64 s[10:11], 0
	s_mov_b64 s[6:7], 0
	s_cbranch_execnz .LBB61_8
	s_branch .LBB61_10
.LBB61_5:
	s_mov_b64 s[6:7], 0
	s_mov_b64 s[10:11], 0
.LBB61_6:
	v_cmp_gt_u32_e32 vcc, v0, v1
	v_cmp_le_u32_e64 s[0:1], v0, v1
	s_andn2_b64 s[6:7], s[6:7], exec
	s_and_b64 s[16:17], vcc, exec
	s_andn2_b64 s[10:11], s[10:11], exec
	s_and_b64 s[0:1], s[0:1], exec
	s_or_b64 s[6:7], s[6:7], s[16:17]
	s_or_b64 s[10:11], s[10:11], s[0:1]
.LBB61_7:
	s_branch .LBB61_10
.LBB61_8:
	s_cmpk_eq_i32 s2, 0x79
	s_mov_b64 s[10:11], -1
	s_cbranch_scc0 .LBB61_10
; %bb.9:
	v_cmp_gt_u32_e32 vcc, v1, v0
	v_cmp_le_u32_e64 s[0:1], v1, v0
	s_andn2_b64 s[6:7], s[6:7], exec
	s_and_b64 s[10:11], vcc, exec
	s_or_b64 s[6:7], s[6:7], s[10:11]
	s_orn2_b64 s[10:11], s[0:1], exec
.LBB61_10:
	s_and_saveexec_b64 s[0:1], s[10:11]
; %bb.11:
	s_cmpk_eq_i32 s3, 0x83
	s_cselect_b64 s[2:3], -1, 0
	v_cmp_eq_u32_e32 vcc, v0, v1
	s_and_b64 s[2:3], s[2:3], vcc
	s_andn2_b64 s[6:7], s[6:7], exec
	s_and_b64 s[2:3], s[2:3], exec
	s_or_b64 s[6:7], s[6:7], s[2:3]
; %bb.12:
	s_or_b64 exec, exec, s[0:1]
	s_and_b64 exec, exec, s[6:7]
	s_cbranch_execz .LBB61_16
; %bb.13:
	s_load_dwordx8 s[0:7], s[4:5], 0x10
	s_ashr_i32 s15, s13, 31
	s_ashr_i32 s16, s14, 31
	s_mul_i32 s15, s15, s8
	s_waitcnt lgkmcnt(0)
	s_ashr_i32 s11, s2, 31
	s_mov_b32 s10, s2
	s_mul_i32 s2, s8, s5
	s_mul_hi_u32 s5, s8, s4
	s_add_i32 s5, s5, s2
	s_mul_i32 s4, s8, s4
	s_lshl_b64 s[4:5], s[4:5], 3
	s_add_u32 s2, s0, s4
	s_addc_u32 s4, s1, s5
	s_lshl_b64 s[0:1], s[10:11], 3
	s_add_u32 s2, s2, s0
	s_mul_hi_u32 s0, s13, s8
	s_mul_i32 s5, s13, s8
	s_addc_u32 s4, s4, s1
	s_add_i32 s0, s0, s15
	s_mul_i32 s1, s5, s16
	s_mul_hi_u32 s8, s5, s14
	s_add_i32 s1, s8, s1
	s_mul_i32 s0, s0, s14
	s_add_i32 s1, s1, s0
	s_mul_i32 s0, s5, s14
	s_lshl_b64 s[0:1], s[0:1], 2
	s_add_u32 s5, s6, s0
	s_addc_u32 s6, s7, s1
	s_cmp_lg_u32 s12, 0
	s_cbranch_scc0 .LBB61_17
; %bb.14:
	v_mad_u64_u32 v[2:3], s[0:1], v1, s9, v[0:1]
	v_mov_b32_e32 v3, 0
	v_lshlrev_b64 v[4:5], 2, v[2:3]
	v_mov_b32_e32 v2, s6
	v_add_co_u32_e32 v4, vcc, s5, v4
	v_addc_co_u32_e32 v5, vcc, v2, v5, vcc
	global_load_dword v6, v[4:5], off
	v_mad_u64_u32 v[4:5], s[0:1], v1, s3, v[0:1]
	v_mov_b32_e32 v5, v3
	v_lshlrev_b64 v[2:3], 3, v[4:5]
	v_mov_b32_e32 v7, s4
	v_add_co_u32_e32 v2, vcc, s2, v2
	v_addc_co_u32_e32 v3, vcc, v7, v3, vcc
	s_waitcnt vmcnt(0)
	global_store_dword v[2:3], v6, off
	s_cbranch_execnz .LBB61_16
.LBB61_15:
	v_mad_u64_u32 v[2:3], s[0:1], v1, s3, v[0:1]
	v_mov_b32_e32 v3, 0
	v_lshlrev_b64 v[4:5], 3, v[2:3]
	v_mov_b32_e32 v2, s4
	v_add_co_u32_e32 v4, vcc, s2, v4
	v_addc_co_u32_e32 v5, vcc, v2, v5, vcc
	global_load_dword v2, v[4:5], off
	v_mad_u64_u32 v[0:1], s[0:1], v1, s9, v[0:1]
	v_mov_b32_e32 v1, v3
	v_lshlrev_b64 v[0:1], 2, v[0:1]
	v_mov_b32_e32 v3, s6
	v_add_co_u32_e32 v0, vcc, s5, v0
	v_addc_co_u32_e32 v1, vcc, v3, v1, vcc
	s_waitcnt vmcnt(0)
	global_store_dword v[0:1], v2, off
.LBB61_16:
	s_endpgm
.LBB61_17:
	s_branch .LBB61_15
	.section	.rodata,"a",@progbits
	.p2align	6, 0x0
	.amdhsa_kernel _ZN9rocsolver6v33100L8copy_matI19rocblas_complex_numIfEfLb1EPS3_TnNSt9enable_ifIX18rocblas_is_complexIT_EEiE4typeELi0EEEvNS0_17copymat_directionEiiT2_iilPT0_13rocblas_fill_17rocblas_diagonal_
		.amdhsa_group_segment_fixed_size 0
		.amdhsa_private_segment_fixed_size 0
		.amdhsa_kernarg_size 312
		.amdhsa_user_sgpr_count 6
		.amdhsa_user_sgpr_private_segment_buffer 1
		.amdhsa_user_sgpr_dispatch_ptr 0
		.amdhsa_user_sgpr_queue_ptr 0
		.amdhsa_user_sgpr_kernarg_segment_ptr 1
		.amdhsa_user_sgpr_dispatch_id 0
		.amdhsa_user_sgpr_flat_scratch_init 0
		.amdhsa_user_sgpr_kernarg_preload_length 0
		.amdhsa_user_sgpr_kernarg_preload_offset 0
		.amdhsa_user_sgpr_private_segment_size 0
		.amdhsa_uses_dynamic_stack 0
		.amdhsa_system_sgpr_private_segment_wavefront_offset 0
		.amdhsa_system_sgpr_workgroup_id_x 1
		.amdhsa_system_sgpr_workgroup_id_y 1
		.amdhsa_system_sgpr_workgroup_id_z 1
		.amdhsa_system_sgpr_workgroup_info 0
		.amdhsa_system_vgpr_workitem_id 1
		.amdhsa_next_free_vgpr 8
		.amdhsa_next_free_sgpr 18
		.amdhsa_accum_offset 8
		.amdhsa_reserve_vcc 1
		.amdhsa_reserve_flat_scratch 0
		.amdhsa_float_round_mode_32 0
		.amdhsa_float_round_mode_16_64 0
		.amdhsa_float_denorm_mode_32 3
		.amdhsa_float_denorm_mode_16_64 3
		.amdhsa_dx10_clamp 1
		.amdhsa_ieee_mode 1
		.amdhsa_fp16_overflow 0
		.amdhsa_tg_split 0
		.amdhsa_exception_fp_ieee_invalid_op 0
		.amdhsa_exception_fp_denorm_src 0
		.amdhsa_exception_fp_ieee_div_zero 0
		.amdhsa_exception_fp_ieee_overflow 0
		.amdhsa_exception_fp_ieee_underflow 0
		.amdhsa_exception_fp_ieee_inexact 0
		.amdhsa_exception_int_div_zero 0
	.end_amdhsa_kernel
	.section	.text._ZN9rocsolver6v33100L8copy_matI19rocblas_complex_numIfEfLb1EPS3_TnNSt9enable_ifIX18rocblas_is_complexIT_EEiE4typeELi0EEEvNS0_17copymat_directionEiiT2_iilPT0_13rocblas_fill_17rocblas_diagonal_,"axG",@progbits,_ZN9rocsolver6v33100L8copy_matI19rocblas_complex_numIfEfLb1EPS3_TnNSt9enable_ifIX18rocblas_is_complexIT_EEiE4typeELi0EEEvNS0_17copymat_directionEiiT2_iilPT0_13rocblas_fill_17rocblas_diagonal_,comdat
.Lfunc_end61:
	.size	_ZN9rocsolver6v33100L8copy_matI19rocblas_complex_numIfEfLb1EPS3_TnNSt9enable_ifIX18rocblas_is_complexIT_EEiE4typeELi0EEEvNS0_17copymat_directionEiiT2_iilPT0_13rocblas_fill_17rocblas_diagonal_, .Lfunc_end61-_ZN9rocsolver6v33100L8copy_matI19rocblas_complex_numIfEfLb1EPS3_TnNSt9enable_ifIX18rocblas_is_complexIT_EEiE4typeELi0EEEvNS0_17copymat_directionEiiT2_iilPT0_13rocblas_fill_17rocblas_diagonal_
                                        ; -- End function
	.section	.AMDGPU.csdata,"",@progbits
; Kernel info:
; codeLenInByte = 596
; NumSgprs: 22
; NumVgprs: 8
; NumAgprs: 0
; TotalNumVgprs: 8
; ScratchSize: 0
; MemoryBound: 0
; FloatMode: 240
; IeeeMode: 1
; LDSByteSize: 0 bytes/workgroup (compile time only)
; SGPRBlocks: 2
; VGPRBlocks: 0
; NumSGPRsForWavesPerEU: 22
; NumVGPRsForWavesPerEU: 8
; AccumOffset: 8
; Occupancy: 8
; WaveLimiterHint : 0
; COMPUTE_PGM_RSRC2:SCRATCH_EN: 0
; COMPUTE_PGM_RSRC2:USER_SGPR: 6
; COMPUTE_PGM_RSRC2:TRAP_HANDLER: 0
; COMPUTE_PGM_RSRC2:TGID_X_EN: 1
; COMPUTE_PGM_RSRC2:TGID_Y_EN: 1
; COMPUTE_PGM_RSRC2:TGID_Z_EN: 1
; COMPUTE_PGM_RSRC2:TIDIG_COMP_CNT: 1
; COMPUTE_PGM_RSRC3_GFX90A:ACCUM_OFFSET: 1
; COMPUTE_PGM_RSRC3_GFX90A:TG_SPLIT: 0
	.section	.text._ZN9rocsolver6v33100L11stedc_copyCI19rocblas_complex_numIfEPS3_S4_EEviT0_iilT1_iil,"axG",@progbits,_ZN9rocsolver6v33100L11stedc_copyCI19rocblas_complex_numIfEPS3_S4_EEviT0_iilT1_iil,comdat
	.globl	_ZN9rocsolver6v33100L11stedc_copyCI19rocblas_complex_numIfEPS3_S4_EEviT0_iilT1_iil ; -- Begin function _ZN9rocsolver6v33100L11stedc_copyCI19rocblas_complex_numIfEPS3_S4_EEviT0_iilT1_iil
	.p2align	8
	.type	_ZN9rocsolver6v33100L11stedc_copyCI19rocblas_complex_numIfEPS3_S4_EEviT0_iilT1_iil,@function
_ZN9rocsolver6v33100L11stedc_copyCI19rocblas_complex_numIfEPS3_S4_EEviT0_iilT1_iil: ; @_ZN9rocsolver6v33100L11stedc_copyCI19rocblas_complex_numIfEPS3_S4_EEviT0_iilT1_iil
; %bb.0:
	s_load_dword s0, s[4:5], 0x44
	s_load_dword s37, s[4:5], 0x0
	s_waitcnt lgkmcnt(0)
	s_and_b32 s33, s0, 0xffff
	s_lshl_b32 s36, s33, 4
	v_cvt_f32_u32_e32 v1, s36
	s_sub_i32 s2, 0, s36
	s_add_i32 s0, s37, -1
	s_ashr_i32 s1, s0, 31
	v_rcp_iflag_f32_e32 v1, v1
	s_abs_i32 s0, s0
	v_mul_f32_e32 v1, 0x4f7ffffe, v1
	v_cvt_u32_f32_e32 v1, v1
	v_readfirstlane_b32 s3, v1
	s_mul_i32 s2, s2, s3
	s_mul_hi_u32 s2, s3, s2
	s_add_i32 s3, s3, s2
	s_mul_hi_u32 s2, s0, s3
	s_mul_i32 s3, s2, s36
	s_sub_i32 s0, s0, s3
	s_add_i32 s8, s2, 1
	s_sub_i32 s3, s0, s36
	s_cmp_ge_u32 s0, s36
	s_cselect_b32 s2, s8, s2
	s_cselect_b32 s0, s3, s0
	s_add_i32 s3, s2, 1
	s_cmp_ge_u32 s0, s36
	s_cselect_b32 s0, s3, s2
	s_xor_b32 s0, s0, s1
	s_sub_i32 s16, s0, s1
	s_cmp_lt_i32 s16, 0
	s_cbranch_scc1 .LBB62_67
; %bb.1:
	s_load_dwordx8 s[8:15], s[4:5], 0x8
	s_load_dwordx4 s[0:3], s[4:5], 0x28
	s_ashr_i32 s17, s7, 31
	s_mul_i32 s44, s33, 3
	s_mul_i32 s46, s33, 5
	s_waitcnt lgkmcnt(0)
	s_ashr_i32 s5, s10, 31
	s_mov_b32 s4, s10
	s_mul_i32 s10, s7, s13
	s_mul_hi_u32 s13, s7, s12
	s_add_i32 s10, s13, s10
	s_mul_i32 s13, s17, s12
	s_add_i32 s13, s10, s13
	s_mul_i32 s12, s7, s12
	s_lshl_b64 s[12:13], s[12:13], 3
	s_add_u32 s8, s8, s12
	s_addc_u32 s9, s9, s13
	s_lshl_b64 s[4:5], s[4:5], 3
	s_add_u32 s8, s8, s4
	s_addc_u32 s9, s9, s5
	s_ashr_i32 s5, s0, 31
	s_mov_b32 s4, s0
	s_mul_i32 s0, s7, s3
	s_mul_hi_u32 s3, s7, s2
	s_add_i32 s0, s3, s0
	s_mul_i32 s17, s17, s2
	s_add_i32 s3, s0, s17
	s_mul_i32 s2, s7, s2
	s_lshl_b64 s[2:3], s[2:3], 3
	s_add_u32 s0, s14, s2
	s_addc_u32 s7, s15, s3
	s_lshl_b64 s[2:3], s[4:5], 3
	s_add_u32 s4, s0, s2
	s_mul_i32 s2, s6, s11
	s_addc_u32 s5, s7, s3
	s_ashr_i32 s3, s2, 31
	s_lshl_b64 s[2:3], s[2:3], 3
	s_add_u32 s38, s8, s2
	s_mul_i32 s0, s6, s1
	s_addc_u32 s39, s9, s3
	s_ashr_i32 s1, s0, 31
	s_lshl_b64 s[0:1], s[0:1], 3
	s_add_u32 s40, s4, s0
	s_addc_u32 s41, s5, s1
	s_add_i32 s42, s16, 1
	s_lshl_b32 s43, s33, 1
	s_lshl_b32 s45, s33, 2
	s_mul_i32 s47, s33, 6
	s_mul_i32 s48, s33, 7
	s_lshl_b32 s49, s33, 3
	s_mul_i32 s50, s33, 9
	s_mul_i32 s51, s33, 10
	;; [unrolled: 1-line block ×7, first 2 shown]
                                        ; implicit-def: $vgpr2_vgpr3
                                        ; implicit-def: $vgpr4_vgpr5
                                        ; implicit-def: $vgpr6_vgpr7
                                        ; implicit-def: $vgpr8_vgpr9
                                        ; implicit-def: $vgpr10_vgpr11
                                        ; implicit-def: $vgpr12_vgpr13
                                        ; implicit-def: $vgpr14_vgpr15
                                        ; implicit-def: $vgpr16_vgpr17
                                        ; implicit-def: $vgpr18_vgpr19
                                        ; implicit-def: $vgpr20_vgpr21
                                        ; implicit-def: $vgpr22_vgpr23
                                        ; implicit-def: $vgpr24_vgpr25
                                        ; implicit-def: $vgpr26_vgpr27
                                        ; implicit-def: $vgpr28_vgpr29
                                        ; implicit-def: $vgpr30_vgpr31
                                        ; implicit-def: $vgpr32_vgpr33
	s_branch .LBB62_3
.LBB62_2:                               ;   in Loop: Header=BB62_3 Depth=1
	s_or_b64 exec, exec, s[0:1]
	s_add_i32 s42, s42, -1
	s_cmp_eq_u32 s42, 0
	v_add_u32_e32 v0, s36, v0
	s_cbranch_scc1 .LBB62_67
.LBB62_3:                               ; =>This Inner Loop Header: Depth=1
	v_cmp_gt_i32_e32 vcc, s37, v0
	v_ashrrev_i32_e32 v1, 31, v0
	s_and_saveexec_b64 s[2:3], vcc
	s_cbranch_execz .LBB62_5
; %bb.4:                                ;   in Loop: Header=BB62_3 Depth=1
	s_waitcnt vmcnt(0)
	v_lshlrev_b64 v[32:33], 3, v[0:1]
	v_mov_b32_e32 v34, s39
	v_add_co_u32_e64 v32, s[0:1], s38, v32
	v_addc_co_u32_e64 v33, s[0:1], v34, v33, s[0:1]
	global_load_dwordx2 v[32:33], v[32:33], off
.LBB62_5:                               ;   in Loop: Header=BB62_3 Depth=1
	s_or_b64 exec, exec, s[2:3]
	v_add_u32_e32 v34, s33, v0
	v_cmp_gt_i32_e64 s[0:1], s37, v34
	v_ashrrev_i32_e32 v35, 31, v34
	s_and_saveexec_b64 s[4:5], s[0:1]
	s_cbranch_execz .LBB62_7
; %bb.6:                                ;   in Loop: Header=BB62_3 Depth=1
	s_waitcnt vmcnt(0)
	v_lshlrev_b64 v[30:31], 3, v[34:35]
	v_mov_b32_e32 v36, s39
	v_add_co_u32_e64 v30, s[2:3], s38, v30
	v_addc_co_u32_e64 v31, s[2:3], v36, v31, s[2:3]
	global_load_dwordx2 v[30:31], v[30:31], off
.LBB62_7:                               ;   in Loop: Header=BB62_3 Depth=1
	s_or_b64 exec, exec, s[4:5]
	v_add_u32_e32 v36, s43, v0
	v_add_u32_e32 v39, s33, v34
	v_cmp_gt_i32_e64 s[2:3], s37, v39
	v_ashrrev_i32_e32 v37, 31, v36
	s_and_saveexec_b64 s[6:7], s[2:3]
	s_cbranch_execz .LBB62_9
; %bb.8:                                ;   in Loop: Header=BB62_3 Depth=1
	s_waitcnt vmcnt(0)
	v_lshlrev_b64 v[28:29], 3, v[36:37]
	v_mov_b32_e32 v38, s39
	v_add_co_u32_e64 v28, s[4:5], s38, v28
	v_addc_co_u32_e64 v29, s[4:5], v38, v29, s[4:5]
	global_load_dwordx2 v[28:29], v[28:29], off
.LBB62_9:                               ;   in Loop: Header=BB62_3 Depth=1
	s_or_b64 exec, exec, s[6:7]
	v_add_u32_e32 v38, s44, v0
	v_add_u32_e32 v41, s33, v39
	v_cmp_gt_i32_e64 s[4:5], s37, v41
	v_ashrrev_i32_e32 v39, 31, v38
	s_and_saveexec_b64 s[8:9], s[4:5]
	s_cbranch_execz .LBB62_11
; %bb.10:                               ;   in Loop: Header=BB62_3 Depth=1
	s_waitcnt vmcnt(0)
	v_lshlrev_b64 v[26:27], 3, v[38:39]
	v_mov_b32_e32 v40, s39
	v_add_co_u32_e64 v26, s[6:7], s38, v26
	v_addc_co_u32_e64 v27, s[6:7], v40, v27, s[6:7]
	global_load_dwordx2 v[26:27], v[26:27], off
.LBB62_11:                              ;   in Loop: Header=BB62_3 Depth=1
	s_or_b64 exec, exec, s[8:9]
	v_add_u32_e32 v40, s45, v0
	v_add_u32_e32 v43, s33, v41
	v_cmp_gt_i32_e64 s[6:7], s37, v43
	v_ashrrev_i32_e32 v41, 31, v40
	s_and_saveexec_b64 s[10:11], s[6:7]
	s_cbranch_execz .LBB62_13
; %bb.12:                               ;   in Loop: Header=BB62_3 Depth=1
	s_waitcnt vmcnt(0)
	v_lshlrev_b64 v[24:25], 3, v[40:41]
	v_mov_b32_e32 v42, s39
	v_add_co_u32_e64 v24, s[8:9], s38, v24
	v_addc_co_u32_e64 v25, s[8:9], v42, v25, s[8:9]
	global_load_dwordx2 v[24:25], v[24:25], off
.LBB62_13:                              ;   in Loop: Header=BB62_3 Depth=1
	;; [unrolled: 15-line block ×12, first 2 shown]
	s_or_b64 exec, exec, s[30:31]
	v_add_u32_e32 v62, s56, v0
	v_add_u32_e32 v63, s33, v63
	v_cmp_gt_i32_e64 s[28:29], s37, v63
	v_ashrrev_i32_e32 v63, 31, v62
	s_and_saveexec_b64 s[34:35], s[28:29]
	s_cbranch_execnz .LBB62_50
; %bb.34:                               ;   in Loop: Header=BB62_3 Depth=1
	s_or_b64 exec, exec, s[34:35]
	s_and_saveexec_b64 s[30:31], vcc
	s_cbranch_execnz .LBB62_51
.LBB62_35:                              ;   in Loop: Header=BB62_3 Depth=1
	s_or_b64 exec, exec, s[30:31]
	s_and_saveexec_b64 s[30:31], s[0:1]
	s_cbranch_execnz .LBB62_52
.LBB62_36:                              ;   in Loop: Header=BB62_3 Depth=1
	s_or_b64 exec, exec, s[30:31]
	s_and_saveexec_b64 s[0:1], s[2:3]
	s_cbranch_execnz .LBB62_53
.LBB62_37:                              ;   in Loop: Header=BB62_3 Depth=1
	s_or_b64 exec, exec, s[0:1]
	s_and_saveexec_b64 s[0:1], s[4:5]
	s_cbranch_execnz .LBB62_54
.LBB62_38:                              ;   in Loop: Header=BB62_3 Depth=1
	s_or_b64 exec, exec, s[0:1]
	s_and_saveexec_b64 s[0:1], s[6:7]
	s_cbranch_execnz .LBB62_55
.LBB62_39:                              ;   in Loop: Header=BB62_3 Depth=1
	s_or_b64 exec, exec, s[0:1]
	s_and_saveexec_b64 s[0:1], s[8:9]
	s_cbranch_execnz .LBB62_56
.LBB62_40:                              ;   in Loop: Header=BB62_3 Depth=1
	s_or_b64 exec, exec, s[0:1]
	s_and_saveexec_b64 s[0:1], s[10:11]
	s_cbranch_execnz .LBB62_57
.LBB62_41:                              ;   in Loop: Header=BB62_3 Depth=1
	s_or_b64 exec, exec, s[0:1]
	s_and_saveexec_b64 s[0:1], s[12:13]
	s_cbranch_execnz .LBB62_58
.LBB62_42:                              ;   in Loop: Header=BB62_3 Depth=1
	s_or_b64 exec, exec, s[0:1]
	s_and_saveexec_b64 s[0:1], s[14:15]
	s_cbranch_execnz .LBB62_59
.LBB62_43:                              ;   in Loop: Header=BB62_3 Depth=1
	s_or_b64 exec, exec, s[0:1]
	s_and_saveexec_b64 s[0:1], s[16:17]
	s_cbranch_execnz .LBB62_60
.LBB62_44:                              ;   in Loop: Header=BB62_3 Depth=1
	s_or_b64 exec, exec, s[0:1]
	s_and_saveexec_b64 s[0:1], s[18:19]
	s_cbranch_execnz .LBB62_61
.LBB62_45:                              ;   in Loop: Header=BB62_3 Depth=1
	s_or_b64 exec, exec, s[0:1]
	s_and_saveexec_b64 s[0:1], s[20:21]
	s_cbranch_execnz .LBB62_62
.LBB62_46:                              ;   in Loop: Header=BB62_3 Depth=1
	s_or_b64 exec, exec, s[0:1]
	s_and_saveexec_b64 s[0:1], s[22:23]
	s_cbranch_execnz .LBB62_63
.LBB62_47:                              ;   in Loop: Header=BB62_3 Depth=1
	s_or_b64 exec, exec, s[0:1]
	s_and_saveexec_b64 s[0:1], s[24:25]
	s_cbranch_execnz .LBB62_64
.LBB62_48:                              ;   in Loop: Header=BB62_3 Depth=1
	s_or_b64 exec, exec, s[0:1]
	s_and_saveexec_b64 s[0:1], s[26:27]
	s_cbranch_execnz .LBB62_65
.LBB62_49:                              ;   in Loop: Header=BB62_3 Depth=1
	s_or_b64 exec, exec, s[0:1]
	s_and_saveexec_b64 s[0:1], s[28:29]
	s_cbranch_execz .LBB62_2
	s_branch .LBB62_66
.LBB62_50:                              ;   in Loop: Header=BB62_3 Depth=1
	s_waitcnt vmcnt(0)
	v_lshlrev_b64 v[2:3], 3, v[62:63]
	v_mov_b32_e32 v64, s39
	v_add_co_u32_e64 v2, s[30:31], s38, v2
	v_addc_co_u32_e64 v3, s[30:31], v64, v3, s[30:31]
	global_load_dwordx2 v[2:3], v[2:3], off
	s_or_b64 exec, exec, s[34:35]
	s_and_saveexec_b64 s[30:31], vcc
	s_cbranch_execz .LBB62_35
.LBB62_51:                              ;   in Loop: Header=BB62_3 Depth=1
	v_lshlrev_b64 v[64:65], 3, v[0:1]
	v_mov_b32_e32 v1, s41
	v_add_co_u32_e32 v64, vcc, s40, v64
	v_addc_co_u32_e32 v65, vcc, v1, v65, vcc
	s_waitcnt vmcnt(0)
	global_store_dwordx2 v[64:65], v[32:33], off
	s_or_b64 exec, exec, s[30:31]
	s_and_saveexec_b64 s[30:31], s[0:1]
	s_cbranch_execz .LBB62_36
.LBB62_52:                              ;   in Loop: Header=BB62_3 Depth=1
	v_lshlrev_b64 v[34:35], 3, v[34:35]
	v_mov_b32_e32 v1, s41
	v_add_co_u32_e32 v34, vcc, s40, v34
	v_addc_co_u32_e32 v35, vcc, v1, v35, vcc
	s_waitcnt vmcnt(0)
	global_store_dwordx2 v[34:35], v[30:31], off
	s_or_b64 exec, exec, s[30:31]
	s_and_saveexec_b64 s[0:1], s[2:3]
	s_cbranch_execz .LBB62_37
.LBB62_53:                              ;   in Loop: Header=BB62_3 Depth=1
	v_lshlrev_b64 v[34:35], 3, v[36:37]
	v_mov_b32_e32 v1, s41
	v_add_co_u32_e32 v34, vcc, s40, v34
	v_addc_co_u32_e32 v35, vcc, v1, v35, vcc
	s_waitcnt vmcnt(0)
	global_store_dwordx2 v[34:35], v[28:29], off
	s_or_b64 exec, exec, s[0:1]
	s_and_saveexec_b64 s[0:1], s[4:5]
	s_cbranch_execz .LBB62_38
.LBB62_54:                              ;   in Loop: Header=BB62_3 Depth=1
	v_lshlrev_b64 v[34:35], 3, v[38:39]
	v_mov_b32_e32 v1, s41
	v_add_co_u32_e32 v34, vcc, s40, v34
	v_addc_co_u32_e32 v35, vcc, v1, v35, vcc
	s_waitcnt vmcnt(0)
	global_store_dwordx2 v[34:35], v[26:27], off
	s_or_b64 exec, exec, s[0:1]
	s_and_saveexec_b64 s[0:1], s[6:7]
	s_cbranch_execz .LBB62_39
.LBB62_55:                              ;   in Loop: Header=BB62_3 Depth=1
	v_lshlrev_b64 v[34:35], 3, v[40:41]
	v_mov_b32_e32 v1, s41
	v_add_co_u32_e32 v34, vcc, s40, v34
	v_addc_co_u32_e32 v35, vcc, v1, v35, vcc
	s_waitcnt vmcnt(0)
	global_store_dwordx2 v[34:35], v[24:25], off
	s_or_b64 exec, exec, s[0:1]
	s_and_saveexec_b64 s[0:1], s[8:9]
	s_cbranch_execz .LBB62_40
.LBB62_56:                              ;   in Loop: Header=BB62_3 Depth=1
	v_lshlrev_b64 v[34:35], 3, v[42:43]
	v_mov_b32_e32 v1, s41
	v_add_co_u32_e32 v34, vcc, s40, v34
	v_addc_co_u32_e32 v35, vcc, v1, v35, vcc
	s_waitcnt vmcnt(0)
	global_store_dwordx2 v[34:35], v[22:23], off
	s_or_b64 exec, exec, s[0:1]
	s_and_saveexec_b64 s[0:1], s[10:11]
	s_cbranch_execz .LBB62_41
.LBB62_57:                              ;   in Loop: Header=BB62_3 Depth=1
	v_lshlrev_b64 v[34:35], 3, v[44:45]
	v_mov_b32_e32 v1, s41
	v_add_co_u32_e32 v34, vcc, s40, v34
	v_addc_co_u32_e32 v35, vcc, v1, v35, vcc
	s_waitcnt vmcnt(0)
	global_store_dwordx2 v[34:35], v[20:21], off
	s_or_b64 exec, exec, s[0:1]
	s_and_saveexec_b64 s[0:1], s[12:13]
	s_cbranch_execz .LBB62_42
.LBB62_58:                              ;   in Loop: Header=BB62_3 Depth=1
	v_lshlrev_b64 v[34:35], 3, v[46:47]
	v_mov_b32_e32 v1, s41
	v_add_co_u32_e32 v34, vcc, s40, v34
	v_addc_co_u32_e32 v35, vcc, v1, v35, vcc
	s_waitcnt vmcnt(0)
	global_store_dwordx2 v[34:35], v[18:19], off
	s_or_b64 exec, exec, s[0:1]
	s_and_saveexec_b64 s[0:1], s[14:15]
	s_cbranch_execz .LBB62_43
.LBB62_59:                              ;   in Loop: Header=BB62_3 Depth=1
	v_lshlrev_b64 v[34:35], 3, v[48:49]
	v_mov_b32_e32 v1, s41
	v_add_co_u32_e32 v34, vcc, s40, v34
	v_addc_co_u32_e32 v35, vcc, v1, v35, vcc
	s_waitcnt vmcnt(0)
	global_store_dwordx2 v[34:35], v[16:17], off
	s_or_b64 exec, exec, s[0:1]
	s_and_saveexec_b64 s[0:1], s[16:17]
	s_cbranch_execz .LBB62_44
.LBB62_60:                              ;   in Loop: Header=BB62_3 Depth=1
	v_lshlrev_b64 v[34:35], 3, v[50:51]
	v_mov_b32_e32 v1, s41
	v_add_co_u32_e32 v34, vcc, s40, v34
	v_addc_co_u32_e32 v35, vcc, v1, v35, vcc
	s_waitcnt vmcnt(0)
	global_store_dwordx2 v[34:35], v[14:15], off
	s_or_b64 exec, exec, s[0:1]
	s_and_saveexec_b64 s[0:1], s[18:19]
	s_cbranch_execz .LBB62_45
.LBB62_61:                              ;   in Loop: Header=BB62_3 Depth=1
	v_lshlrev_b64 v[34:35], 3, v[52:53]
	v_mov_b32_e32 v1, s41
	v_add_co_u32_e32 v34, vcc, s40, v34
	v_addc_co_u32_e32 v35, vcc, v1, v35, vcc
	s_waitcnt vmcnt(0)
	global_store_dwordx2 v[34:35], v[12:13], off
	s_or_b64 exec, exec, s[0:1]
	s_and_saveexec_b64 s[0:1], s[20:21]
	s_cbranch_execz .LBB62_46
.LBB62_62:                              ;   in Loop: Header=BB62_3 Depth=1
	v_lshlrev_b64 v[34:35], 3, v[54:55]
	v_mov_b32_e32 v1, s41
	v_add_co_u32_e32 v34, vcc, s40, v34
	v_addc_co_u32_e32 v35, vcc, v1, v35, vcc
	s_waitcnt vmcnt(0)
	global_store_dwordx2 v[34:35], v[10:11], off
	s_or_b64 exec, exec, s[0:1]
	s_and_saveexec_b64 s[0:1], s[22:23]
	s_cbranch_execz .LBB62_47
.LBB62_63:                              ;   in Loop: Header=BB62_3 Depth=1
	v_lshlrev_b64 v[34:35], 3, v[56:57]
	v_mov_b32_e32 v1, s41
	v_add_co_u32_e32 v34, vcc, s40, v34
	v_addc_co_u32_e32 v35, vcc, v1, v35, vcc
	s_waitcnt vmcnt(0)
	global_store_dwordx2 v[34:35], v[8:9], off
	s_or_b64 exec, exec, s[0:1]
	s_and_saveexec_b64 s[0:1], s[24:25]
	s_cbranch_execz .LBB62_48
.LBB62_64:                              ;   in Loop: Header=BB62_3 Depth=1
	v_lshlrev_b64 v[34:35], 3, v[58:59]
	v_mov_b32_e32 v1, s41
	v_add_co_u32_e32 v34, vcc, s40, v34
	v_addc_co_u32_e32 v35, vcc, v1, v35, vcc
	s_waitcnt vmcnt(0)
	global_store_dwordx2 v[34:35], v[6:7], off
	s_or_b64 exec, exec, s[0:1]
	s_and_saveexec_b64 s[0:1], s[26:27]
	s_cbranch_execz .LBB62_49
.LBB62_65:                              ;   in Loop: Header=BB62_3 Depth=1
	v_lshlrev_b64 v[34:35], 3, v[60:61]
	v_mov_b32_e32 v1, s41
	v_add_co_u32_e32 v34, vcc, s40, v34
	v_addc_co_u32_e32 v35, vcc, v1, v35, vcc
	s_waitcnt vmcnt(0)
	global_store_dwordx2 v[34:35], v[4:5], off
	s_or_b64 exec, exec, s[0:1]
	s_and_saveexec_b64 s[0:1], s[28:29]
	s_cbranch_execz .LBB62_2
.LBB62_66:                              ;   in Loop: Header=BB62_3 Depth=1
	v_lshlrev_b64 v[34:35], 3, v[62:63]
	v_mov_b32_e32 v1, s41
	v_add_co_u32_e32 v34, vcc, s40, v34
	v_addc_co_u32_e32 v35, vcc, v1, v35, vcc
	s_waitcnt vmcnt(0)
	global_store_dwordx2 v[34:35], v[2:3], off
	s_branch .LBB62_2
.LBB62_67:
	s_endpgm
	.section	.rodata,"a",@progbits
	.p2align	6, 0x0
	.amdhsa_kernel _ZN9rocsolver6v33100L11stedc_copyCI19rocblas_complex_numIfEPS3_S4_EEviT0_iilT1_iil
		.amdhsa_group_segment_fixed_size 0
		.amdhsa_private_segment_fixed_size 0
		.amdhsa_kernarg_size 312
		.amdhsa_user_sgpr_count 6
		.amdhsa_user_sgpr_private_segment_buffer 1
		.amdhsa_user_sgpr_dispatch_ptr 0
		.amdhsa_user_sgpr_queue_ptr 0
		.amdhsa_user_sgpr_kernarg_segment_ptr 1
		.amdhsa_user_sgpr_dispatch_id 0
		.amdhsa_user_sgpr_flat_scratch_init 0
		.amdhsa_user_sgpr_kernarg_preload_length 0
		.amdhsa_user_sgpr_kernarg_preload_offset 0
		.amdhsa_user_sgpr_private_segment_size 0
		.amdhsa_uses_dynamic_stack 0
		.amdhsa_system_sgpr_private_segment_wavefront_offset 0
		.amdhsa_system_sgpr_workgroup_id_x 1
		.amdhsa_system_sgpr_workgroup_id_y 1
		.amdhsa_system_sgpr_workgroup_id_z 0
		.amdhsa_system_sgpr_workgroup_info 0
		.amdhsa_system_vgpr_workitem_id 0
		.amdhsa_next_free_vgpr 66
		.amdhsa_next_free_sgpr 57
		.amdhsa_accum_offset 68
		.amdhsa_reserve_vcc 1
		.amdhsa_reserve_flat_scratch 0
		.amdhsa_float_round_mode_32 0
		.amdhsa_float_round_mode_16_64 0
		.amdhsa_float_denorm_mode_32 3
		.amdhsa_float_denorm_mode_16_64 3
		.amdhsa_dx10_clamp 1
		.amdhsa_ieee_mode 1
		.amdhsa_fp16_overflow 0
		.amdhsa_tg_split 0
		.amdhsa_exception_fp_ieee_invalid_op 0
		.amdhsa_exception_fp_denorm_src 0
		.amdhsa_exception_fp_ieee_div_zero 0
		.amdhsa_exception_fp_ieee_overflow 0
		.amdhsa_exception_fp_ieee_underflow 0
		.amdhsa_exception_fp_ieee_inexact 0
		.amdhsa_exception_int_div_zero 0
	.end_amdhsa_kernel
	.section	.text._ZN9rocsolver6v33100L11stedc_copyCI19rocblas_complex_numIfEPS3_S4_EEviT0_iilT1_iil,"axG",@progbits,_ZN9rocsolver6v33100L11stedc_copyCI19rocblas_complex_numIfEPS3_S4_EEviT0_iilT1_iil,comdat
.Lfunc_end62:
	.size	_ZN9rocsolver6v33100L11stedc_copyCI19rocblas_complex_numIfEPS3_S4_EEviT0_iilT1_iil, .Lfunc_end62-_ZN9rocsolver6v33100L11stedc_copyCI19rocblas_complex_numIfEPS3_S4_EEviT0_iilT1_iil
                                        ; -- End function
	.section	.AMDGPU.csdata,"",@progbits
; Kernel info:
; codeLenInByte = 2444
; NumSgprs: 61
; NumVgprs: 66
; NumAgprs: 0
; TotalNumVgprs: 66
; ScratchSize: 0
; MemoryBound: 0
; FloatMode: 240
; IeeeMode: 1
; LDSByteSize: 0 bytes/workgroup (compile time only)
; SGPRBlocks: 7
; VGPRBlocks: 8
; NumSGPRsForWavesPerEU: 61
; NumVGPRsForWavesPerEU: 66
; AccumOffset: 68
; Occupancy: 7
; WaveLimiterHint : 0
; COMPUTE_PGM_RSRC2:SCRATCH_EN: 0
; COMPUTE_PGM_RSRC2:USER_SGPR: 6
; COMPUTE_PGM_RSRC2:TRAP_HANDLER: 0
; COMPUTE_PGM_RSRC2:TGID_X_EN: 1
; COMPUTE_PGM_RSRC2:TGID_Y_EN: 1
; COMPUTE_PGM_RSRC2:TGID_Z_EN: 0
; COMPUTE_PGM_RSRC2:TIDIG_COMP_CNT: 0
; COMPUTE_PGM_RSRC3_GFX90A:ACCUM_OFFSET: 16
; COMPUTE_PGM_RSRC3_GFX90A:TG_SPLIT: 0
	.section	.text._ZN9rocsolver6v33100L10stedc_sortI19rocblas_complex_numIfEfPS3_S4_EEviPT0_lS6_lT1_iilT2_iil,"axG",@progbits,_ZN9rocsolver6v33100L10stedc_sortI19rocblas_complex_numIfEfPS3_S4_EEviPT0_lS6_lT1_iilT2_iil,comdat
	.globl	_ZN9rocsolver6v33100L10stedc_sortI19rocblas_complex_numIfEfPS3_S4_EEviPT0_lS6_lT1_iilT2_iil ; -- Begin function _ZN9rocsolver6v33100L10stedc_sortI19rocblas_complex_numIfEfPS3_S4_EEviPT0_lS6_lT1_iilT2_iil
	.p2align	8
	.type	_ZN9rocsolver6v33100L10stedc_sortI19rocblas_complex_numIfEfPS3_S4_EEviPT0_lS6_lT1_iilT2_iil,@function
_ZN9rocsolver6v33100L10stedc_sortI19rocblas_complex_numIfEfPS3_S4_EEviPT0_lS6_lT1_iilT2_iil: ; @_ZN9rocsolver6v33100L10stedc_sortI19rocblas_complex_numIfEfPS3_S4_EEviPT0_lS6_lT1_iilT2_iil
; %bb.0:
	s_load_dwordx8 s[36:43], s[4:5], 0x8
	s_ashr_i32 s64, s7, 31
	s_load_dword s2, s[4:5], 0x64
	s_mov_b32 s33, s7
	s_load_dword s52, s[4:5], 0x0
	s_waitcnt lgkmcnt(0)
	s_mul_i32 s0, s7, s39
	s_mul_hi_u32 s1, s7, s38
	s_add_i32 s0, s1, s0
	s_mul_i32 s1, s64, s38
	s_add_i32 s1, s0, s1
	s_mul_i32 s0, s7, s38
	s_lshl_b64 s[0:1], s[0:1], 2
	s_add_u32 s66, s36, s0
	s_addc_u32 s67, s37, s1
	s_ashr_i32 s7, s6, 31
	s_lshl_b64 s[44:45], s[6:7], 2
	s_add_u32 s0, s66, s44
	s_addc_u32 s1, s67, s45
	s_and_b32 s50, s2, 0xffff
	s_lshl_b32 s51, s50, 4
	v_cvt_f32_u32_e32 v1, s51
	s_sub_i32 s2, 0, s51
	s_load_dwordx2 s[38:39], s[4:5], 0x28
	s_load_dword s65, s[0:1], 0x0
	s_add_i32 s0, s52, -1
	v_rcp_iflag_f32_e32 v1, v1
	s_ashr_i32 s1, s0, 31
	s_abs_i32 s0, s0
	v_mov_b32_e32 v18, 0
	v_mul_f32_e32 v1, 0x4f7ffffe, v1
	v_cvt_u32_f32_e32 v1, v1
	s_mul_i32 s53, s50, 3
	s_mul_i32 s54, s50, 5
	;; [unrolled: 1-line block ×3, first 2 shown]
	v_readfirstlane_b32 s3, v1
	s_mul_i32 s2, s2, s3
	s_mul_hi_u32 s2, s3, s2
	s_add_i32 s3, s3, s2
	s_mul_hi_u32 s2, s0, s3
	s_mul_i32 s3, s2, s51
	s_sub_i32 s0, s0, s3
	s_add_i32 s3, s2, 1
	s_sub_i32 s7, s0, s51
	s_cmp_ge_u32 s0, s51
	s_cselect_b32 s2, s3, s2
	s_cselect_b32 s0, s7, s0
	s_add_i32 s3, s2, 1
	s_cmp_ge_u32 s0, s51
	s_cselect_b32 s0, s3, s2
	s_xor_b32 s0, s0, s1
	s_sub_i32 s7, s0, s1
	s_cmp_gt_i32 s7, -1
	s_cselect_b64 s[46:47], -1, 0
	s_cmp_lt_i32 s7, 0
	s_mul_i32 s56, s50, 7
	s_mul_i32 s57, s50, 9
	;; [unrolled: 1-line block ×8, first 2 shown]
	s_cbranch_scc1 .LBB63_67
; %bb.1:
	s_add_i32 s68, s7, 1
	s_lshl_b32 s69, s50, 1
	s_lshl_b32 s70, s50, 2
	;; [unrolled: 1-line block ×3, first 2 shown]
	v_mov_b32_e32 v1, 0
	v_mov_b32_e32 v18, v0
	;; [unrolled: 1-line block ×4, first 2 shown]
                                        ; implicit-def: $vgpr3
                                        ; implicit-def: $vgpr5
                                        ; implicit-def: $vgpr7
                                        ; implicit-def: $vgpr9
                                        ; implicit-def: $vgpr11
                                        ; implicit-def: $vgpr13
                                        ; implicit-def: $vgpr15
                                        ; implicit-def: $vgpr17
	s_branch .LBB63_3
.LBB63_2:                               ;   in Loop: Header=BB63_3 Depth=1
	s_or_b64 exec, exec, s[2:3]
	s_add_i32 s68, s68, -1
	s_cmp_eq_u32 s68, 0
	v_add_u32_e32 v18, s51, v18
	s_cbranch_scc1 .LBB63_68
.LBB63_3:                               ; =>This Inner Loop Header: Depth=1
	v_cmp_gt_i32_e64 s[34:35], s52, v18
	s_and_saveexec_b64 s[0:1], s[34:35]
	s_cbranch_execz .LBB63_5
; %bb.4:                                ;   in Loop: Header=BB63_3 Depth=1
	v_ashrrev_i32_e32 v19, 31, v18
	v_lshlrev_b64 v[20:21], 2, v[18:19]
	s_waitcnt vmcnt(0)
	v_mov_b32_e32 v16, s67
	v_add_co_u32_e32 v20, vcc, s66, v20
	v_addc_co_u32_e32 v21, vcc, v16, v21, vcc
	global_load_dword v16, v[20:21], off
.LBB63_5:                               ;   in Loop: Header=BB63_3 Depth=1
	s_or_b64 exec, exec, s[0:1]
	v_add_u32_e32 v48, s50, v18
	v_cmp_gt_i32_e64 s[30:31], s52, v48
	s_and_saveexec_b64 s[0:1], s[30:31]
	s_cbranch_execz .LBB63_7
; %bb.6:                                ;   in Loop: Header=BB63_3 Depth=1
	v_ashrrev_i32_e32 v49, 31, v48
	v_lshlrev_b64 v[20:21], 2, v[48:49]
	s_waitcnt vmcnt(0)
	v_mov_b32_e32 v17, s67
	v_add_co_u32_e32 v20, vcc, s66, v20
	v_addc_co_u32_e32 v21, vcc, v17, v21, vcc
	global_load_dword v17, v[20:21], off
.LBB63_7:                               ;   in Loop: Header=BB63_3 Depth=1
	s_or_b64 exec, exec, s[0:1]
	v_add_u32_e32 v46, s69, v18
	;; [unrolled: 14-line block ×3, first 2 shown]
	v_cmp_gt_i32_e64 s[26:27], s52, v44
	s_and_saveexec_b64 s[0:1], s[26:27]
	s_cbranch_execz .LBB63_11
; %bb.10:                               ;   in Loop: Header=BB63_3 Depth=1
	v_ashrrev_i32_e32 v45, 31, v44
	v_lshlrev_b64 v[20:21], 2, v[44:45]
	s_waitcnt vmcnt(0)
	v_mov_b32_e32 v15, s67
	v_add_co_u32_e32 v20, vcc, s66, v20
	v_addc_co_u32_e32 v21, vcc, v15, v21, vcc
	global_load_dword v15, v[20:21], off
.LBB63_11:                              ;   in Loop: Header=BB63_3 Depth=1
	s_or_b64 exec, exec, s[0:1]
	v_add_u32_e32 v42, s70, v18
	v_cmp_gt_i32_e64 s[24:25], s52, v42
	s_and_saveexec_b64 s[0:1], s[24:25]
	s_cbranch_execz .LBB63_13
; %bb.12:                               ;   in Loop: Header=BB63_3 Depth=1
	v_ashrrev_i32_e32 v43, 31, v42
	v_lshlrev_b64 v[20:21], 2, v[42:43]
	s_waitcnt vmcnt(0)
	v_mov_b32_e32 v12, s67
	v_add_co_u32_e32 v20, vcc, s66, v20
	v_addc_co_u32_e32 v21, vcc, v12, v21, vcc
	global_load_dword v12, v[20:21], off
.LBB63_13:                              ;   in Loop: Header=BB63_3 Depth=1
	s_or_b64 exec, exec, s[0:1]
	v_add_u32_e32 v40, s54, v18
	;; [unrolled: 14-line block ×12, first 2 shown]
	v_cmp_gt_i32_e32 vcc, s52, v20
	s_and_saveexec_b64 s[48:49], vcc
	s_cbranch_execnz .LBB63_50
; %bb.34:                               ;   in Loop: Header=BB63_3 Depth=1
	s_or_b64 exec, exec, s[48:49]
	s_and_saveexec_b64 s[48:49], s[34:35]
	s_cbranch_execnz .LBB63_51
.LBB63_35:                              ;   in Loop: Header=BB63_3 Depth=1
	s_or_b64 exec, exec, s[48:49]
	s_and_saveexec_b64 s[36:37], s[30:31]
	s_cbranch_execnz .LBB63_52
.LBB63_36:                              ;   in Loop: Header=BB63_3 Depth=1
	s_or_b64 exec, exec, s[36:37]
	s_and_saveexec_b64 s[34:35], s[28:29]
	s_cbranch_execnz .LBB63_53
.LBB63_37:                              ;   in Loop: Header=BB63_3 Depth=1
	s_or_b64 exec, exec, s[34:35]
	s_and_saveexec_b64 s[30:31], s[26:27]
	s_cbranch_execnz .LBB63_54
.LBB63_38:                              ;   in Loop: Header=BB63_3 Depth=1
	s_or_b64 exec, exec, s[30:31]
	s_and_saveexec_b64 s[28:29], s[24:25]
	s_cbranch_execnz .LBB63_55
.LBB63_39:                              ;   in Loop: Header=BB63_3 Depth=1
	s_or_b64 exec, exec, s[28:29]
	s_and_saveexec_b64 s[26:27], s[22:23]
	s_cbranch_execnz .LBB63_56
.LBB63_40:                              ;   in Loop: Header=BB63_3 Depth=1
	s_or_b64 exec, exec, s[26:27]
	s_and_saveexec_b64 s[24:25], s[20:21]
	s_cbranch_execnz .LBB63_57
.LBB63_41:                              ;   in Loop: Header=BB63_3 Depth=1
	s_or_b64 exec, exec, s[24:25]
	s_and_saveexec_b64 s[22:23], s[18:19]
	s_cbranch_execnz .LBB63_58
.LBB63_42:                              ;   in Loop: Header=BB63_3 Depth=1
	s_or_b64 exec, exec, s[22:23]
	s_and_saveexec_b64 s[20:21], s[16:17]
	s_cbranch_execnz .LBB63_59
.LBB63_43:                              ;   in Loop: Header=BB63_3 Depth=1
	s_or_b64 exec, exec, s[20:21]
	s_and_saveexec_b64 s[18:19], s[14:15]
	s_cbranch_execnz .LBB63_60
.LBB63_44:                              ;   in Loop: Header=BB63_3 Depth=1
	s_or_b64 exec, exec, s[18:19]
	s_and_saveexec_b64 s[16:17], s[12:13]
	s_cbranch_execnz .LBB63_61
.LBB63_45:                              ;   in Loop: Header=BB63_3 Depth=1
	s_or_b64 exec, exec, s[16:17]
	s_and_saveexec_b64 s[14:15], s[10:11]
	s_cbranch_execnz .LBB63_62
.LBB63_46:                              ;   in Loop: Header=BB63_3 Depth=1
	s_or_b64 exec, exec, s[14:15]
	s_and_saveexec_b64 s[12:13], s[8:9]
	s_cbranch_execnz .LBB63_63
.LBB63_47:                              ;   in Loop: Header=BB63_3 Depth=1
	s_or_b64 exec, exec, s[12:13]
	s_and_saveexec_b64 s[10:11], s[2:3]
	s_cbranch_execnz .LBB63_64
.LBB63_48:                              ;   in Loop: Header=BB63_3 Depth=1
	s_or_b64 exec, exec, s[10:11]
	s_and_saveexec_b64 s[8:9], s[0:1]
	s_cbranch_execnz .LBB63_65
.LBB63_49:                              ;   in Loop: Header=BB63_3 Depth=1
	s_or_b64 exec, exec, s[8:9]
	s_and_saveexec_b64 s[2:3], vcc
	s_cbranch_execz .LBB63_2
	s_branch .LBB63_66
.LBB63_50:                              ;   in Loop: Header=BB63_3 Depth=1
	v_ashrrev_i32_e32 v21, 31, v20
	v_lshlrev_b64 v[52:53], 2, v[20:21]
	s_waitcnt vmcnt(0)
	v_mov_b32_e32 v3, s67
	v_add_co_u32_e64 v52, s[36:37], s66, v52
	v_addc_co_u32_e64 v53, s[36:37], v3, v53, s[36:37]
	global_load_dword v3, v[52:53], off
	s_or_b64 exec, exec, s[48:49]
	s_and_saveexec_b64 s[48:49], s[34:35]
	s_cbranch_execz .LBB63_35
.LBB63_51:                              ;   in Loop: Header=BB63_3 Depth=1
	s_waitcnt vmcnt(0)
	v_cmp_u_f32_e64 s[34:35], v16, v16
	v_addc_co_u32_e64 v1, s[34:35], 0, v1, s[34:35]
	s_waitcnt lgkmcnt(0)
	v_cmp_gt_f32_e64 s[34:35], s65, v16
	v_addc_co_u32_e64 v50, s[34:35], 0, v50, s[34:35]
	v_cmp_eq_f32_e64 s[34:35], s65, v16
	v_cmp_gt_i32_e64 s[36:37], s6, v18
	s_and_b64 s[34:35], s[36:37], s[34:35]
	v_addc_co_u32_e64 v51, s[34:35], 0, v51, s[34:35]
	s_or_b64 exec, exec, s[48:49]
	s_and_saveexec_b64 s[36:37], s[30:31]
	s_cbranch_execz .LBB63_36
.LBB63_52:                              ;   in Loop: Header=BB63_3 Depth=1
	s_waitcnt vmcnt(0)
	v_cmp_u_f32_e64 s[30:31], v17, v17
	v_addc_co_u32_e64 v1, s[30:31], 0, v1, s[30:31]
	s_waitcnt lgkmcnt(0)
	v_cmp_gt_f32_e64 s[30:31], s65, v17
	v_addc_co_u32_e64 v50, s[30:31], 0, v50, s[30:31]
	v_cmp_eq_f32_e64 s[30:31], s65, v17
	v_cmp_gt_i32_e64 s[34:35], s6, v48
	s_and_b64 s[30:31], s[34:35], s[30:31]
	v_addc_co_u32_e64 v51, s[30:31], 0, v51, s[30:31]
	s_or_b64 exec, exec, s[36:37]
	s_and_saveexec_b64 s[34:35], s[28:29]
	s_cbranch_execz .LBB63_37
.LBB63_53:                              ;   in Loop: Header=BB63_3 Depth=1
	s_waitcnt vmcnt(0)
	v_cmp_u_f32_e64 s[28:29], v14, v14
	v_addc_co_u32_e64 v1, s[28:29], 0, v1, s[28:29]
	s_waitcnt lgkmcnt(0)
	v_cmp_gt_f32_e64 s[28:29], s65, v14
	v_addc_co_u32_e64 v50, s[28:29], 0, v50, s[28:29]
	v_cmp_eq_f32_e64 s[28:29], s65, v14
	v_cmp_gt_i32_e64 s[30:31], s6, v46
	s_and_b64 s[28:29], s[30:31], s[28:29]
	v_addc_co_u32_e64 v51, s[28:29], 0, v51, s[28:29]
	s_or_b64 exec, exec, s[34:35]
	s_and_saveexec_b64 s[30:31], s[26:27]
	s_cbranch_execz .LBB63_38
.LBB63_54:                              ;   in Loop: Header=BB63_3 Depth=1
	s_waitcnt vmcnt(0)
	v_cmp_u_f32_e64 s[26:27], v15, v15
	v_addc_co_u32_e64 v1, s[26:27], 0, v1, s[26:27]
	s_waitcnt lgkmcnt(0)
	v_cmp_gt_f32_e64 s[26:27], s65, v15
	v_addc_co_u32_e64 v50, s[26:27], 0, v50, s[26:27]
	v_cmp_eq_f32_e64 s[26:27], s65, v15
	v_cmp_gt_i32_e64 s[28:29], s6, v44
	s_and_b64 s[26:27], s[28:29], s[26:27]
	v_addc_co_u32_e64 v51, s[26:27], 0, v51, s[26:27]
	s_or_b64 exec, exec, s[30:31]
	s_and_saveexec_b64 s[28:29], s[24:25]
	s_cbranch_execz .LBB63_39
.LBB63_55:                              ;   in Loop: Header=BB63_3 Depth=1
	s_waitcnt vmcnt(0)
	v_cmp_u_f32_e64 s[24:25], v12, v12
	v_addc_co_u32_e64 v1, s[24:25], 0, v1, s[24:25]
	s_waitcnt lgkmcnt(0)
	v_cmp_gt_f32_e64 s[24:25], s65, v12
	v_addc_co_u32_e64 v50, s[24:25], 0, v50, s[24:25]
	v_cmp_eq_f32_e64 s[24:25], s65, v12
	v_cmp_gt_i32_e64 s[26:27], s6, v42
	s_and_b64 s[24:25], s[26:27], s[24:25]
	v_addc_co_u32_e64 v51, s[24:25], 0, v51, s[24:25]
	s_or_b64 exec, exec, s[28:29]
	s_and_saveexec_b64 s[26:27], s[22:23]
	s_cbranch_execz .LBB63_40
.LBB63_56:                              ;   in Loop: Header=BB63_3 Depth=1
	s_waitcnt vmcnt(0)
	v_cmp_u_f32_e64 s[22:23], v13, v13
	v_addc_co_u32_e64 v1, s[22:23], 0, v1, s[22:23]
	s_waitcnt lgkmcnt(0)
	v_cmp_gt_f32_e64 s[22:23], s65, v13
	v_addc_co_u32_e64 v50, s[22:23], 0, v50, s[22:23]
	v_cmp_eq_f32_e64 s[22:23], s65, v13
	v_cmp_gt_i32_e64 s[24:25], s6, v40
	s_and_b64 s[22:23], s[24:25], s[22:23]
	v_addc_co_u32_e64 v51, s[22:23], 0, v51, s[22:23]
	s_or_b64 exec, exec, s[26:27]
	s_and_saveexec_b64 s[24:25], s[20:21]
	s_cbranch_execz .LBB63_41
.LBB63_57:                              ;   in Loop: Header=BB63_3 Depth=1
	s_waitcnt vmcnt(0)
	v_cmp_u_f32_e64 s[20:21], v10, v10
	v_addc_co_u32_e64 v1, s[20:21], 0, v1, s[20:21]
	s_waitcnt lgkmcnt(0)
	v_cmp_gt_f32_e64 s[20:21], s65, v10
	v_addc_co_u32_e64 v50, s[20:21], 0, v50, s[20:21]
	v_cmp_eq_f32_e64 s[20:21], s65, v10
	v_cmp_gt_i32_e64 s[22:23], s6, v38
	s_and_b64 s[20:21], s[22:23], s[20:21]
	v_addc_co_u32_e64 v51, s[20:21], 0, v51, s[20:21]
	s_or_b64 exec, exec, s[24:25]
	s_and_saveexec_b64 s[22:23], s[18:19]
	s_cbranch_execz .LBB63_42
.LBB63_58:                              ;   in Loop: Header=BB63_3 Depth=1
	s_waitcnt vmcnt(0)
	v_cmp_u_f32_e64 s[18:19], v11, v11
	v_addc_co_u32_e64 v1, s[18:19], 0, v1, s[18:19]
	s_waitcnt lgkmcnt(0)
	v_cmp_gt_f32_e64 s[18:19], s65, v11
	v_addc_co_u32_e64 v50, s[18:19], 0, v50, s[18:19]
	v_cmp_eq_f32_e64 s[18:19], s65, v11
	v_cmp_gt_i32_e64 s[20:21], s6, v36
	s_and_b64 s[18:19], s[20:21], s[18:19]
	v_addc_co_u32_e64 v51, s[18:19], 0, v51, s[18:19]
	s_or_b64 exec, exec, s[22:23]
	s_and_saveexec_b64 s[20:21], s[16:17]
	s_cbranch_execz .LBB63_43
.LBB63_59:                              ;   in Loop: Header=BB63_3 Depth=1
	s_waitcnt vmcnt(0)
	v_cmp_u_f32_e64 s[16:17], v8, v8
	v_addc_co_u32_e64 v1, s[16:17], 0, v1, s[16:17]
	s_waitcnt lgkmcnt(0)
	v_cmp_gt_f32_e64 s[16:17], s65, v8
	v_addc_co_u32_e64 v50, s[16:17], 0, v50, s[16:17]
	v_cmp_eq_f32_e64 s[16:17], s65, v8
	v_cmp_gt_i32_e64 s[18:19], s6, v34
	s_and_b64 s[16:17], s[18:19], s[16:17]
	v_addc_co_u32_e64 v51, s[16:17], 0, v51, s[16:17]
	s_or_b64 exec, exec, s[20:21]
	s_and_saveexec_b64 s[18:19], s[14:15]
	s_cbranch_execz .LBB63_44
.LBB63_60:                              ;   in Loop: Header=BB63_3 Depth=1
	s_waitcnt vmcnt(0)
	v_cmp_u_f32_e64 s[14:15], v9, v9
	v_addc_co_u32_e64 v1, s[14:15], 0, v1, s[14:15]
	s_waitcnt lgkmcnt(0)
	v_cmp_gt_f32_e64 s[14:15], s65, v9
	v_addc_co_u32_e64 v50, s[14:15], 0, v50, s[14:15]
	v_cmp_eq_f32_e64 s[14:15], s65, v9
	v_cmp_gt_i32_e64 s[16:17], s6, v32
	s_and_b64 s[14:15], s[16:17], s[14:15]
	v_addc_co_u32_e64 v51, s[14:15], 0, v51, s[14:15]
	s_or_b64 exec, exec, s[18:19]
	s_and_saveexec_b64 s[16:17], s[12:13]
	s_cbranch_execz .LBB63_45
.LBB63_61:                              ;   in Loop: Header=BB63_3 Depth=1
	s_waitcnt vmcnt(0)
	v_cmp_u_f32_e64 s[12:13], v6, v6
	v_addc_co_u32_e64 v1, s[12:13], 0, v1, s[12:13]
	s_waitcnt lgkmcnt(0)
	v_cmp_gt_f32_e64 s[12:13], s65, v6
	v_addc_co_u32_e64 v50, s[12:13], 0, v50, s[12:13]
	v_cmp_eq_f32_e64 s[12:13], s65, v6
	v_cmp_gt_i32_e64 s[14:15], s6, v30
	s_and_b64 s[12:13], s[14:15], s[12:13]
	v_addc_co_u32_e64 v51, s[12:13], 0, v51, s[12:13]
	s_or_b64 exec, exec, s[16:17]
	s_and_saveexec_b64 s[14:15], s[10:11]
	s_cbranch_execz .LBB63_46
.LBB63_62:                              ;   in Loop: Header=BB63_3 Depth=1
	s_waitcnt vmcnt(0)
	v_cmp_u_f32_e64 s[10:11], v7, v7
	v_addc_co_u32_e64 v1, s[10:11], 0, v1, s[10:11]
	s_waitcnt lgkmcnt(0)
	v_cmp_gt_f32_e64 s[10:11], s65, v7
	v_addc_co_u32_e64 v50, s[10:11], 0, v50, s[10:11]
	v_cmp_eq_f32_e64 s[10:11], s65, v7
	v_cmp_gt_i32_e64 s[12:13], s6, v28
	s_and_b64 s[10:11], s[12:13], s[10:11]
	v_addc_co_u32_e64 v51, s[10:11], 0, v51, s[10:11]
	s_or_b64 exec, exec, s[14:15]
	s_and_saveexec_b64 s[12:13], s[8:9]
	s_cbranch_execz .LBB63_47
.LBB63_63:                              ;   in Loop: Header=BB63_3 Depth=1
	s_waitcnt vmcnt(0)
	v_cmp_u_f32_e64 s[8:9], v4, v4
	v_addc_co_u32_e64 v1, s[8:9], 0, v1, s[8:9]
	s_waitcnt lgkmcnt(0)
	v_cmp_gt_f32_e64 s[8:9], s65, v4
	v_addc_co_u32_e64 v50, s[8:9], 0, v50, s[8:9]
	v_cmp_eq_f32_e64 s[8:9], s65, v4
	v_cmp_gt_i32_e64 s[10:11], s6, v26
	s_and_b64 s[8:9], s[10:11], s[8:9]
	v_addc_co_u32_e64 v51, s[8:9], 0, v51, s[8:9]
	s_or_b64 exec, exec, s[12:13]
	s_and_saveexec_b64 s[10:11], s[2:3]
	s_cbranch_execz .LBB63_48
.LBB63_64:                              ;   in Loop: Header=BB63_3 Depth=1
	s_waitcnt vmcnt(0)
	v_cmp_u_f32_e64 s[2:3], v5, v5
	v_addc_co_u32_e64 v1, s[2:3], 0, v1, s[2:3]
	s_waitcnt lgkmcnt(0)
	v_cmp_gt_f32_e64 s[2:3], s65, v5
	v_addc_co_u32_e64 v50, s[2:3], 0, v50, s[2:3]
	v_cmp_eq_f32_e64 s[2:3], s65, v5
	v_cmp_gt_i32_e64 s[8:9], s6, v24
	s_and_b64 s[2:3], s[8:9], s[2:3]
	v_addc_co_u32_e64 v51, s[2:3], 0, v51, s[2:3]
	s_or_b64 exec, exec, s[10:11]
	s_and_saveexec_b64 s[8:9], s[0:1]
	s_cbranch_execz .LBB63_49
.LBB63_65:                              ;   in Loop: Header=BB63_3 Depth=1
	s_waitcnt vmcnt(0)
	v_cmp_u_f32_e64 s[0:1], v2, v2
	v_addc_co_u32_e64 v1, s[0:1], 0, v1, s[0:1]
	s_waitcnt lgkmcnt(0)
	v_cmp_gt_f32_e64 s[0:1], s65, v2
	v_addc_co_u32_e64 v50, s[0:1], 0, v50, s[0:1]
	v_cmp_eq_f32_e64 s[0:1], s65, v2
	v_cmp_gt_i32_e64 s[2:3], s6, v22
	s_and_b64 s[0:1], s[2:3], s[0:1]
	v_addc_co_u32_e64 v51, s[0:1], 0, v51, s[0:1]
	s_or_b64 exec, exec, s[8:9]
	s_and_saveexec_b64 s[2:3], vcc
	s_cbranch_execz .LBB63_2
.LBB63_66:                              ;   in Loop: Header=BB63_3 Depth=1
	s_waitcnt vmcnt(0)
	v_cmp_u_f32_e32 vcc, v3, v3
	v_addc_co_u32_e32 v1, vcc, 0, v1, vcc
	s_waitcnt lgkmcnt(0)
	v_cmp_gt_f32_e32 vcc, s65, v3
	v_addc_co_u32_e32 v50, vcc, 0, v50, vcc
	v_cmp_eq_f32_e32 vcc, s65, v3
	v_cmp_gt_i32_e64 s[0:1], s6, v20
	s_and_b64 vcc, s[0:1], vcc
	v_addc_co_u32_e32 v51, vcc, 0, v51, vcc
	s_branch .LBB63_2
.LBB63_67:
	s_mov_b64 s[0:1], -1
                                        ; implicit-def: $vgpr16_vgpr17
                                        ; implicit-def: $vgpr14_vgpr15
                                        ; implicit-def: $vgpr12_vgpr13
                                        ; implicit-def: $vgpr10_vgpr11
                                        ; implicit-def: $vgpr8_vgpr9
                                        ; implicit-def: $vgpr6_vgpr7
                                        ; implicit-def: $vgpr4_vgpr5
                                        ; implicit-def: $vgpr2_vgpr3
	v_lshlrev_b32_e32 v1, 2, v0
	s_cmp_lt_u32 s50, 2
	ds_write_b32 v1, v18
	s_cbranch_scc0 .LBB63_69
	s_branch .LBB63_73
.LBB63_68:
	v_add_u32_e32 v18, v50, v51
	v_cmp_eq_u32_e64 s[0:1], 0, v1
	v_lshlrev_b32_e32 v1, 2, v0
	s_cmp_lt_u32 s50, 2
	ds_write_b32 v1, v18
	s_cbranch_scc1 .LBB63_73
.LBB63_69:
	s_mov_b32 s8, s50
	s_branch .LBB63_71
.LBB63_70:                              ;   in Loop: Header=BB63_71 Depth=1
	s_or_b64 exec, exec, s[2:3]
	s_cmp_lt_u32 s8, 4
	s_mov_b32 s8, s9
	s_cbranch_scc1 .LBB63_73
.LBB63_71:                              ; =>This Inner Loop Header: Depth=1
	s_lshr_b32 s9, s8, 1
	v_cmp_gt_u32_e32 vcc, s9, v0
	s_waitcnt lgkmcnt(0)
	s_barrier
	s_and_saveexec_b64 s[2:3], vcc
	s_cbranch_execz .LBB63_70
; %bb.72:                               ;   in Loop: Header=BB63_71 Depth=1
	v_lshl_add_u32 v19, s9, 2, v1
	ds_read_b32 v19, v19
	s_waitcnt lgkmcnt(0)
	v_add_u32_e32 v18, v19, v18
	ds_write_b32 v1, v18
	s_branch .LBB63_70
.LBB63_73:
	v_mov_b32_e32 v1, 0
	s_xor_b64 s[2:3], s[0:1], -1
	s_mul_i32 s0, s33, s43
	s_mul_hi_u32 s1, s33, s42
	s_waitcnt lgkmcnt(0)
	s_barrier
	ds_read_b32 v18, v1
	s_add_i32 s0, s1, s0
	s_mul_i32 s1, s64, s42
	s_add_i32 s1, s0, s1
	s_mul_i32 s0, s33, s42
	s_lshl_b64 s[0:1], s[0:1], 2
	s_add_u32 s10, s40, s0
	s_addc_u32 s11, s41, s1
	s_waitcnt lgkmcnt(0)
	v_readfirstlane_b32 s0, v18
	v_cmp_eq_u32_e32 vcc, 0, v0
	s_and_saveexec_b64 s[8:9], vcc
	s_cbranch_execnz .LBB63_76
; %bb.74:
	s_or_b64 exec, exec, s[8:9]
	s_and_saveexec_b64 s[8:9], s[2:3]
	s_cbranch_execnz .LBB63_77
.LBB63_75:
	s_or_b64 exec, exec, s[8:9]
	s_andn2_b64 vcc, exec, s[46:47]
	s_cbranch_vccz .LBB63_78
	s_branch .LBB63_144
.LBB63_76:
	s_ashr_i32 s1, s0, 31
	s_lshl_b64 s[12:13], s[0:1], 2
	s_add_u32 s12, s10, s12
	s_addc_u32 s13, s11, s13
	v_mov_b32_e32 v18, s65
	global_store_dword v1, v18, s[12:13]
	s_or_b64 exec, exec, s[8:9]
	s_and_saveexec_b64 s[8:9], s[2:3]
	s_cbranch_execz .LBB63_75
.LBB63_77:
	s_add_u32 s2, s10, s44
	s_addc_u32 s3, s11, s45
	v_mov_b32_e32 v1, 0
	v_mov_b32_e32 v18, 0x7fc00000
	global_store_dword v1, v18, s[2:3]
	s_or_b64 exec, exec, s[8:9]
	s_andn2_b64 vcc, exec, s[46:47]
	s_cbranch_vccnz .LBB63_144
.LBB63_78:
	s_load_dwordx2 s[2:3], s[4:5], 0x30
	s_load_dwordx8 s[8:15], s[4:5], 0x38
                                        ; implicit-def: $vgpr18_vgpr19
                                        ; implicit-def: $vgpr20_vgpr21
                                        ; implicit-def: $vgpr22_vgpr23
                                        ; implicit-def: $vgpr24_vgpr25
                                        ; implicit-def: $vgpr26_vgpr27
                                        ; implicit-def: $vgpr28_vgpr29
                                        ; implicit-def: $vgpr30_vgpr31
                                        ; implicit-def: $vgpr32_vgpr33
	s_waitcnt lgkmcnt(0)
	s_ashr_i32 s5, s2, 31
	s_mov_b32 s4, s2
	s_mul_i32 s1, s33, s9
	s_mul_hi_u32 s2, s33, s8
	s_add_i32 s1, s2, s1
	s_mul_i32 s2, s64, s8
	s_add_i32 s9, s1, s2
	s_mul_i32 s8, s33, s8
	s_lshl_b64 s[8:9], s[8:9], 3
	s_add_u32 s1, s38, s8
	s_addc_u32 s2, s39, s9
	s_lshl_b64 s[4:5], s[4:5], 3
	s_add_u32 s1, s1, s4
	s_addc_u32 s16, s2, s5
	s_mul_i32 s2, s33, s15
	s_mul_hi_u32 s8, s33, s14
	s_add_i32 s2, s8, s2
	s_mul_i32 s8, s64, s14
	s_add_i32 s9, s2, s8
	s_mul_i32 s8, s33, s14
	s_ashr_i32 s5, s12, 31
	s_lshl_b64 s[8:9], s[8:9], 3
	s_mov_b32 s4, s12
	s_add_u32 s2, s10, s8
	s_addc_u32 s8, s11, s9
	s_lshl_b64 s[4:5], s[4:5], 3
	s_add_u32 s4, s2, s4
	s_mul_i32 s2, s6, s3
	s_addc_u32 s5, s8, s5
	s_ashr_i32 s3, s2, 31
	s_lshl_b64 s[2:3], s[2:3], 3
	s_add_u32 s33, s1, s2
	s_mul_i32 s0, s0, s13
	s_addc_u32 s36, s16, s3
	s_ashr_i32 s1, s0, 31
	s_lshl_b64 s[0:1], s[0:1], 3
	s_add_u32 s37, s4, s0
	s_addc_u32 s38, s5, s1
	s_add_i32 s39, s7, 1
	s_lshl_b32 s40, s50, 1
	s_lshl_b32 s41, s50, 2
	;; [unrolled: 1-line block ×3, first 2 shown]
	s_branch .LBB63_80
.LBB63_79:                              ;   in Loop: Header=BB63_80 Depth=1
	s_or_b64 exec, exec, s[0:1]
	s_add_i32 s39, s39, -1
	s_cmp_eq_u32 s39, 0
	v_add_u32_e32 v0, s51, v0
	s_cbranch_scc1 .LBB63_144
.LBB63_80:                              ; =>This Inner Loop Header: Depth=1
	v_cmp_gt_i32_e32 vcc, s52, v0
	v_ashrrev_i32_e32 v1, 31, v0
	s_and_saveexec_b64 s[2:3], vcc
	s_cbranch_execz .LBB63_82
; %bb.81:                               ;   in Loop: Header=BB63_80 Depth=1
	s_waitcnt vmcnt(0)
	v_lshlrev_b64 v[16:17], 3, v[0:1]
	v_mov_b32_e32 v34, s36
	v_add_co_u32_e64 v16, s[0:1], s33, v16
	v_addc_co_u32_e64 v17, s[0:1], v34, v17, s[0:1]
	global_load_dwordx2 v[16:17], v[16:17], off
.LBB63_82:                              ;   in Loop: Header=BB63_80 Depth=1
	s_or_b64 exec, exec, s[2:3]
	v_add_u32_e32 v34, s50, v0
	v_cmp_gt_i32_e64 s[0:1], s52, v34
	v_ashrrev_i32_e32 v35, 31, v34
	s_and_saveexec_b64 s[4:5], s[0:1]
	s_cbranch_execz .LBB63_84
; %bb.83:                               ;   in Loop: Header=BB63_80 Depth=1
	s_waitcnt vmcnt(0)
	v_lshlrev_b64 v[14:15], 3, v[34:35]
	v_mov_b32_e32 v36, s36
	v_add_co_u32_e64 v14, s[2:3], s33, v14
	v_addc_co_u32_e64 v15, s[2:3], v36, v15, s[2:3]
	global_load_dwordx2 v[14:15], v[14:15], off
.LBB63_84:                              ;   in Loop: Header=BB63_80 Depth=1
	s_or_b64 exec, exec, s[4:5]
	v_add_u32_e32 v36, s40, v0
	v_add_u32_e32 v39, s50, v34
	v_cmp_gt_i32_e64 s[2:3], s52, v39
	v_ashrrev_i32_e32 v37, 31, v36
	s_and_saveexec_b64 s[6:7], s[2:3]
	s_cbranch_execz .LBB63_86
; %bb.85:                               ;   in Loop: Header=BB63_80 Depth=1
	s_waitcnt vmcnt(0)
	v_lshlrev_b64 v[12:13], 3, v[36:37]
	v_mov_b32_e32 v38, s36
	v_add_co_u32_e64 v12, s[4:5], s33, v12
	v_addc_co_u32_e64 v13, s[4:5], v38, v13, s[4:5]
	global_load_dwordx2 v[12:13], v[12:13], off
.LBB63_86:                              ;   in Loop: Header=BB63_80 Depth=1
	s_or_b64 exec, exec, s[6:7]
	v_add_u32_e32 v38, s53, v0
	;; [unrolled: 15-line block ×8, first 2 shown]
	v_add_u32_e32 v53, s50, v51
	v_cmp_gt_i32_e64 s[16:17], s52, v53
	v_ashrrev_i32_e32 v51, 31, v50
	s_and_saveexec_b64 s[20:21], s[16:17]
	s_cbranch_execz .LBB63_100
; %bb.99:                               ;   in Loop: Header=BB63_80 Depth=1
	s_waitcnt vmcnt(0)
	v_lshlrev_b64 v[30:31], 3, v[50:51]
	v_mov_b32_e32 v52, s36
	v_add_co_u32_e64 v30, s[18:19], s33, v30
	v_addc_co_u32_e64 v31, s[18:19], v52, v31, s[18:19]
	global_load_dwordx2 v[30:31], v[30:31], off
.LBB63_100:                             ;   in Loop: Header=BB63_80 Depth=1
	s_or_b64 exec, exec, s[20:21]
	v_add_u32_e32 v52, s58, v0
	v_add_u32_e32 v55, s50, v53
	v_cmp_gt_i32_e64 s[18:19], s52, v55
	v_ashrrev_i32_e32 v53, 31, v52
	s_and_saveexec_b64 s[22:23], s[18:19]
	s_cbranch_execz .LBB63_102
; %bb.101:                              ;   in Loop: Header=BB63_80 Depth=1
	s_waitcnt vmcnt(0)
	v_lshlrev_b64 v[28:29], 3, v[52:53]
	v_mov_b32_e32 v54, s36
	v_add_co_u32_e64 v28, s[20:21], s33, v28
	v_addc_co_u32_e64 v29, s[20:21], v54, v29, s[20:21]
	global_load_dwordx2 v[28:29], v[28:29], off
.LBB63_102:                             ;   in Loop: Header=BB63_80 Depth=1
	s_or_b64 exec, exec, s[22:23]
	v_add_u32_e32 v54, s59, v0
	v_add_u32_e32 v57, s50, v55
	v_cmp_gt_i32_e64 s[20:21], s52, v57
	v_ashrrev_i32_e32 v55, 31, v54
	s_and_saveexec_b64 s[24:25], s[20:21]
	s_cbranch_execz .LBB63_104
; %bb.103:                              ;   in Loop: Header=BB63_80 Depth=1
	s_waitcnt vmcnt(0)
	v_lshlrev_b64 v[26:27], 3, v[54:55]
	v_mov_b32_e32 v56, s36
	v_add_co_u32_e64 v26, s[22:23], s33, v26
	v_addc_co_u32_e64 v27, s[22:23], v56, v27, s[22:23]
	global_load_dwordx2 v[26:27], v[26:27], off
.LBB63_104:                             ;   in Loop: Header=BB63_80 Depth=1
	;; [unrolled: 15-line block ×5, first 2 shown]
	s_or_b64 exec, exec, s[30:31]
	v_add_u32_e32 v62, s63, v0
	v_add_u32_e32 v63, s50, v63
	v_cmp_gt_i32_e64 s[28:29], s52, v63
	v_ashrrev_i32_e32 v63, 31, v62
	s_and_saveexec_b64 s[34:35], s[28:29]
	s_cbranch_execnz .LBB63_127
; %bb.111:                              ;   in Loop: Header=BB63_80 Depth=1
	s_or_b64 exec, exec, s[34:35]
	s_and_saveexec_b64 s[30:31], vcc
	s_cbranch_execnz .LBB63_128
.LBB63_112:                             ;   in Loop: Header=BB63_80 Depth=1
	s_or_b64 exec, exec, s[30:31]
	s_and_saveexec_b64 s[30:31], s[0:1]
	s_cbranch_execnz .LBB63_129
.LBB63_113:                             ;   in Loop: Header=BB63_80 Depth=1
	s_or_b64 exec, exec, s[30:31]
	s_and_saveexec_b64 s[0:1], s[2:3]
	s_cbranch_execnz .LBB63_130
.LBB63_114:                             ;   in Loop: Header=BB63_80 Depth=1
	s_or_b64 exec, exec, s[0:1]
	s_and_saveexec_b64 s[0:1], s[4:5]
	s_cbranch_execnz .LBB63_131
.LBB63_115:                             ;   in Loop: Header=BB63_80 Depth=1
	s_or_b64 exec, exec, s[0:1]
	s_and_saveexec_b64 s[0:1], s[6:7]
	s_cbranch_execnz .LBB63_132
.LBB63_116:                             ;   in Loop: Header=BB63_80 Depth=1
	s_or_b64 exec, exec, s[0:1]
	s_and_saveexec_b64 s[0:1], s[8:9]
	s_cbranch_execnz .LBB63_133
.LBB63_117:                             ;   in Loop: Header=BB63_80 Depth=1
	s_or_b64 exec, exec, s[0:1]
	s_and_saveexec_b64 s[0:1], s[10:11]
	s_cbranch_execnz .LBB63_134
.LBB63_118:                             ;   in Loop: Header=BB63_80 Depth=1
	s_or_b64 exec, exec, s[0:1]
	s_and_saveexec_b64 s[0:1], s[12:13]
	s_cbranch_execnz .LBB63_135
.LBB63_119:                             ;   in Loop: Header=BB63_80 Depth=1
	s_or_b64 exec, exec, s[0:1]
	s_and_saveexec_b64 s[0:1], s[14:15]
	s_cbranch_execnz .LBB63_136
.LBB63_120:                             ;   in Loop: Header=BB63_80 Depth=1
	s_or_b64 exec, exec, s[0:1]
	s_and_saveexec_b64 s[0:1], s[16:17]
	s_cbranch_execnz .LBB63_137
.LBB63_121:                             ;   in Loop: Header=BB63_80 Depth=1
	s_or_b64 exec, exec, s[0:1]
	s_and_saveexec_b64 s[0:1], s[18:19]
	s_cbranch_execnz .LBB63_138
.LBB63_122:                             ;   in Loop: Header=BB63_80 Depth=1
	s_or_b64 exec, exec, s[0:1]
	s_and_saveexec_b64 s[0:1], s[20:21]
	s_cbranch_execnz .LBB63_139
.LBB63_123:                             ;   in Loop: Header=BB63_80 Depth=1
	s_or_b64 exec, exec, s[0:1]
	s_and_saveexec_b64 s[0:1], s[22:23]
	s_cbranch_execnz .LBB63_140
.LBB63_124:                             ;   in Loop: Header=BB63_80 Depth=1
	s_or_b64 exec, exec, s[0:1]
	s_and_saveexec_b64 s[0:1], s[24:25]
	s_cbranch_execnz .LBB63_141
.LBB63_125:                             ;   in Loop: Header=BB63_80 Depth=1
	s_or_b64 exec, exec, s[0:1]
	s_and_saveexec_b64 s[0:1], s[26:27]
	s_cbranch_execnz .LBB63_142
.LBB63_126:                             ;   in Loop: Header=BB63_80 Depth=1
	s_or_b64 exec, exec, s[0:1]
	s_and_saveexec_b64 s[0:1], s[28:29]
	s_cbranch_execz .LBB63_79
	s_branch .LBB63_143
.LBB63_127:                             ;   in Loop: Header=BB63_80 Depth=1
	s_waitcnt vmcnt(0)
	v_lshlrev_b64 v[18:19], 3, v[62:63]
	v_mov_b32_e32 v64, s36
	v_add_co_u32_e64 v18, s[30:31], s33, v18
	v_addc_co_u32_e64 v19, s[30:31], v64, v19, s[30:31]
	global_load_dwordx2 v[18:19], v[18:19], off
	s_or_b64 exec, exec, s[34:35]
	s_and_saveexec_b64 s[30:31], vcc
	s_cbranch_execz .LBB63_112
.LBB63_128:                             ;   in Loop: Header=BB63_80 Depth=1
	v_lshlrev_b64 v[64:65], 3, v[0:1]
	v_mov_b32_e32 v1, s38
	v_add_co_u32_e32 v64, vcc, s37, v64
	v_addc_co_u32_e32 v65, vcc, v1, v65, vcc
	s_waitcnt vmcnt(0)
	global_store_dwordx2 v[64:65], v[16:17], off
	s_or_b64 exec, exec, s[30:31]
	s_and_saveexec_b64 s[30:31], s[0:1]
	s_cbranch_execz .LBB63_113
.LBB63_129:                             ;   in Loop: Header=BB63_80 Depth=1
	v_lshlrev_b64 v[34:35], 3, v[34:35]
	v_mov_b32_e32 v1, s38
	v_add_co_u32_e32 v34, vcc, s37, v34
	v_addc_co_u32_e32 v35, vcc, v1, v35, vcc
	s_waitcnt vmcnt(0)
	global_store_dwordx2 v[34:35], v[14:15], off
	s_or_b64 exec, exec, s[30:31]
	s_and_saveexec_b64 s[0:1], s[2:3]
	s_cbranch_execz .LBB63_114
.LBB63_130:                             ;   in Loop: Header=BB63_80 Depth=1
	v_lshlrev_b64 v[34:35], 3, v[36:37]
	v_mov_b32_e32 v1, s38
	v_add_co_u32_e32 v34, vcc, s37, v34
	v_addc_co_u32_e32 v35, vcc, v1, v35, vcc
	s_waitcnt vmcnt(0)
	global_store_dwordx2 v[34:35], v[12:13], off
	s_or_b64 exec, exec, s[0:1]
	s_and_saveexec_b64 s[0:1], s[4:5]
	s_cbranch_execz .LBB63_115
.LBB63_131:                             ;   in Loop: Header=BB63_80 Depth=1
	v_lshlrev_b64 v[34:35], 3, v[38:39]
	v_mov_b32_e32 v1, s38
	v_add_co_u32_e32 v34, vcc, s37, v34
	v_addc_co_u32_e32 v35, vcc, v1, v35, vcc
	s_waitcnt vmcnt(0)
	global_store_dwordx2 v[34:35], v[10:11], off
	s_or_b64 exec, exec, s[0:1]
	s_and_saveexec_b64 s[0:1], s[6:7]
	s_cbranch_execz .LBB63_116
.LBB63_132:                             ;   in Loop: Header=BB63_80 Depth=1
	v_lshlrev_b64 v[34:35], 3, v[40:41]
	v_mov_b32_e32 v1, s38
	v_add_co_u32_e32 v34, vcc, s37, v34
	v_addc_co_u32_e32 v35, vcc, v1, v35, vcc
	s_waitcnt vmcnt(0)
	global_store_dwordx2 v[34:35], v[8:9], off
	s_or_b64 exec, exec, s[0:1]
	s_and_saveexec_b64 s[0:1], s[8:9]
	s_cbranch_execz .LBB63_117
.LBB63_133:                             ;   in Loop: Header=BB63_80 Depth=1
	v_lshlrev_b64 v[34:35], 3, v[42:43]
	v_mov_b32_e32 v1, s38
	v_add_co_u32_e32 v34, vcc, s37, v34
	v_addc_co_u32_e32 v35, vcc, v1, v35, vcc
	s_waitcnt vmcnt(0)
	global_store_dwordx2 v[34:35], v[6:7], off
	s_or_b64 exec, exec, s[0:1]
	s_and_saveexec_b64 s[0:1], s[10:11]
	s_cbranch_execz .LBB63_118
.LBB63_134:                             ;   in Loop: Header=BB63_80 Depth=1
	v_lshlrev_b64 v[34:35], 3, v[44:45]
	v_mov_b32_e32 v1, s38
	v_add_co_u32_e32 v34, vcc, s37, v34
	v_addc_co_u32_e32 v35, vcc, v1, v35, vcc
	s_waitcnt vmcnt(0)
	global_store_dwordx2 v[34:35], v[4:5], off
	s_or_b64 exec, exec, s[0:1]
	s_and_saveexec_b64 s[0:1], s[12:13]
	s_cbranch_execz .LBB63_119
.LBB63_135:                             ;   in Loop: Header=BB63_80 Depth=1
	v_lshlrev_b64 v[34:35], 3, v[46:47]
	v_mov_b32_e32 v1, s38
	v_add_co_u32_e32 v34, vcc, s37, v34
	v_addc_co_u32_e32 v35, vcc, v1, v35, vcc
	s_waitcnt vmcnt(0)
	global_store_dwordx2 v[34:35], v[2:3], off
	s_or_b64 exec, exec, s[0:1]
	s_and_saveexec_b64 s[0:1], s[14:15]
	s_cbranch_execz .LBB63_120
.LBB63_136:                             ;   in Loop: Header=BB63_80 Depth=1
	v_lshlrev_b64 v[34:35], 3, v[48:49]
	v_mov_b32_e32 v1, s38
	v_add_co_u32_e32 v34, vcc, s37, v34
	v_addc_co_u32_e32 v35, vcc, v1, v35, vcc
	s_waitcnt vmcnt(0)
	global_store_dwordx2 v[34:35], v[32:33], off
	s_or_b64 exec, exec, s[0:1]
	s_and_saveexec_b64 s[0:1], s[16:17]
	s_cbranch_execz .LBB63_121
.LBB63_137:                             ;   in Loop: Header=BB63_80 Depth=1
	v_lshlrev_b64 v[34:35], 3, v[50:51]
	v_mov_b32_e32 v1, s38
	v_add_co_u32_e32 v34, vcc, s37, v34
	v_addc_co_u32_e32 v35, vcc, v1, v35, vcc
	s_waitcnt vmcnt(0)
	global_store_dwordx2 v[34:35], v[30:31], off
	s_or_b64 exec, exec, s[0:1]
	s_and_saveexec_b64 s[0:1], s[18:19]
	s_cbranch_execz .LBB63_122
.LBB63_138:                             ;   in Loop: Header=BB63_80 Depth=1
	v_lshlrev_b64 v[34:35], 3, v[52:53]
	v_mov_b32_e32 v1, s38
	v_add_co_u32_e32 v34, vcc, s37, v34
	v_addc_co_u32_e32 v35, vcc, v1, v35, vcc
	s_waitcnt vmcnt(0)
	global_store_dwordx2 v[34:35], v[28:29], off
	s_or_b64 exec, exec, s[0:1]
	s_and_saveexec_b64 s[0:1], s[20:21]
	s_cbranch_execz .LBB63_123
.LBB63_139:                             ;   in Loop: Header=BB63_80 Depth=1
	v_lshlrev_b64 v[34:35], 3, v[54:55]
	v_mov_b32_e32 v1, s38
	v_add_co_u32_e32 v34, vcc, s37, v34
	v_addc_co_u32_e32 v35, vcc, v1, v35, vcc
	s_waitcnt vmcnt(0)
	global_store_dwordx2 v[34:35], v[26:27], off
	s_or_b64 exec, exec, s[0:1]
	s_and_saveexec_b64 s[0:1], s[22:23]
	s_cbranch_execz .LBB63_124
.LBB63_140:                             ;   in Loop: Header=BB63_80 Depth=1
	v_lshlrev_b64 v[34:35], 3, v[56:57]
	v_mov_b32_e32 v1, s38
	v_add_co_u32_e32 v34, vcc, s37, v34
	v_addc_co_u32_e32 v35, vcc, v1, v35, vcc
	s_waitcnt vmcnt(0)
	global_store_dwordx2 v[34:35], v[24:25], off
	s_or_b64 exec, exec, s[0:1]
	s_and_saveexec_b64 s[0:1], s[24:25]
	s_cbranch_execz .LBB63_125
.LBB63_141:                             ;   in Loop: Header=BB63_80 Depth=1
	v_lshlrev_b64 v[34:35], 3, v[58:59]
	v_mov_b32_e32 v1, s38
	v_add_co_u32_e32 v34, vcc, s37, v34
	v_addc_co_u32_e32 v35, vcc, v1, v35, vcc
	s_waitcnt vmcnt(0)
	global_store_dwordx2 v[34:35], v[22:23], off
	s_or_b64 exec, exec, s[0:1]
	s_and_saveexec_b64 s[0:1], s[26:27]
	s_cbranch_execz .LBB63_126
.LBB63_142:                             ;   in Loop: Header=BB63_80 Depth=1
	v_lshlrev_b64 v[34:35], 3, v[60:61]
	v_mov_b32_e32 v1, s38
	v_add_co_u32_e32 v34, vcc, s37, v34
	v_addc_co_u32_e32 v35, vcc, v1, v35, vcc
	s_waitcnt vmcnt(0)
	global_store_dwordx2 v[34:35], v[20:21], off
	s_or_b64 exec, exec, s[0:1]
	s_and_saveexec_b64 s[0:1], s[28:29]
	s_cbranch_execz .LBB63_79
.LBB63_143:                             ;   in Loop: Header=BB63_80 Depth=1
	v_lshlrev_b64 v[34:35], 3, v[62:63]
	v_mov_b32_e32 v1, s38
	v_add_co_u32_e32 v34, vcc, s37, v34
	v_addc_co_u32_e32 v35, vcc, v1, v35, vcc
	s_waitcnt vmcnt(0)
	global_store_dwordx2 v[34:35], v[18:19], off
	s_branch .LBB63_79
.LBB63_144:
	s_endpgm
	.section	.rodata,"a",@progbits
	.p2align	6, 0x0
	.amdhsa_kernel _ZN9rocsolver6v33100L10stedc_sortI19rocblas_complex_numIfEfPS3_S4_EEviPT0_lS6_lT1_iilT2_iil
		.amdhsa_group_segment_fixed_size 2048
		.amdhsa_private_segment_fixed_size 0
		.amdhsa_kernarg_size 344
		.amdhsa_user_sgpr_count 6
		.amdhsa_user_sgpr_private_segment_buffer 1
		.amdhsa_user_sgpr_dispatch_ptr 0
		.amdhsa_user_sgpr_queue_ptr 0
		.amdhsa_user_sgpr_kernarg_segment_ptr 1
		.amdhsa_user_sgpr_dispatch_id 0
		.amdhsa_user_sgpr_flat_scratch_init 0
		.amdhsa_user_sgpr_kernarg_preload_length 0
		.amdhsa_user_sgpr_kernarg_preload_offset 0
		.amdhsa_user_sgpr_private_segment_size 0
		.amdhsa_uses_dynamic_stack 0
		.amdhsa_system_sgpr_private_segment_wavefront_offset 0
		.amdhsa_system_sgpr_workgroup_id_x 1
		.amdhsa_system_sgpr_workgroup_id_y 1
		.amdhsa_system_sgpr_workgroup_id_z 0
		.amdhsa_system_sgpr_workgroup_info 0
		.amdhsa_system_vgpr_workitem_id 0
		.amdhsa_next_free_vgpr 66
		.amdhsa_next_free_sgpr 72
		.amdhsa_accum_offset 68
		.amdhsa_reserve_vcc 1
		.amdhsa_reserve_flat_scratch 0
		.amdhsa_float_round_mode_32 0
		.amdhsa_float_round_mode_16_64 0
		.amdhsa_float_denorm_mode_32 3
		.amdhsa_float_denorm_mode_16_64 3
		.amdhsa_dx10_clamp 1
		.amdhsa_ieee_mode 1
		.amdhsa_fp16_overflow 0
		.amdhsa_tg_split 0
		.amdhsa_exception_fp_ieee_invalid_op 0
		.amdhsa_exception_fp_denorm_src 0
		.amdhsa_exception_fp_ieee_div_zero 0
		.amdhsa_exception_fp_ieee_overflow 0
		.amdhsa_exception_fp_ieee_underflow 0
		.amdhsa_exception_fp_ieee_inexact 0
		.amdhsa_exception_int_div_zero 0
	.end_amdhsa_kernel
	.section	.text._ZN9rocsolver6v33100L10stedc_sortI19rocblas_complex_numIfEfPS3_S4_EEviPT0_lS6_lT1_iilT2_iil,"axG",@progbits,_ZN9rocsolver6v33100L10stedc_sortI19rocblas_complex_numIfEfPS3_S4_EEviPT0_lS6_lT1_iilT2_iil,comdat
.Lfunc_end63:
	.size	_ZN9rocsolver6v33100L10stedc_sortI19rocblas_complex_numIfEfPS3_S4_EEviPT0_lS6_lT1_iilT2_iil, .Lfunc_end63-_ZN9rocsolver6v33100L10stedc_sortI19rocblas_complex_numIfEfPS3_S4_EEviPT0_lS6_lT1_iilT2_iil
                                        ; -- End function
	.section	.AMDGPU.csdata,"",@progbits
; Kernel info:
; codeLenInByte = 5336
; NumSgprs: 76
; NumVgprs: 66
; NumAgprs: 0
; TotalNumVgprs: 66
; ScratchSize: 0
; MemoryBound: 0
; FloatMode: 240
; IeeeMode: 1
; LDSByteSize: 2048 bytes/workgroup (compile time only)
; SGPRBlocks: 9
; VGPRBlocks: 8
; NumSGPRsForWavesPerEU: 76
; NumVGPRsForWavesPerEU: 66
; AccumOffset: 68
; Occupancy: 7
; WaveLimiterHint : 0
; COMPUTE_PGM_RSRC2:SCRATCH_EN: 0
; COMPUTE_PGM_RSRC2:USER_SGPR: 6
; COMPUTE_PGM_RSRC2:TRAP_HANDLER: 0
; COMPUTE_PGM_RSRC2:TGID_X_EN: 1
; COMPUTE_PGM_RSRC2:TGID_Y_EN: 1
; COMPUTE_PGM_RSRC2:TGID_Z_EN: 0
; COMPUTE_PGM_RSRC2:TIDIG_COMP_CNT: 0
; COMPUTE_PGM_RSRC3_GFX90A:ACCUM_OFFSET: 16
; COMPUTE_PGM_RSRC3_GFX90A:TG_SPLIT: 0
	.section	.text._ZN9rocsolver6v33100L16reset_batch_infoI19rocblas_complex_numIdEiiPS3_EEvT2_lT0_T1_,"axG",@progbits,_ZN9rocsolver6v33100L16reset_batch_infoI19rocblas_complex_numIdEiiPS3_EEvT2_lT0_T1_,comdat
	.globl	_ZN9rocsolver6v33100L16reset_batch_infoI19rocblas_complex_numIdEiiPS3_EEvT2_lT0_T1_ ; -- Begin function _ZN9rocsolver6v33100L16reset_batch_infoI19rocblas_complex_numIdEiiPS3_EEvT2_lT0_T1_
	.p2align	8
	.type	_ZN9rocsolver6v33100L16reset_batch_infoI19rocblas_complex_numIdEiiPS3_EEvT2_lT0_T1_,@function
_ZN9rocsolver6v33100L16reset_batch_infoI19rocblas_complex_numIdEiiPS3_EEvT2_lT0_T1_: ; @_ZN9rocsolver6v33100L16reset_batch_infoI19rocblas_complex_numIdEiiPS3_EEvT2_lT0_T1_
; %bb.0:
	s_load_dword s2, s[4:5], 0x24
	s_load_dwordx2 s[0:1], s[4:5], 0x10
	s_waitcnt lgkmcnt(0)
	s_and_b32 s2, s2, 0xffff
	s_mul_i32 s6, s6, s2
	v_add_u32_e32 v0, s6, v0
	v_cmp_gt_i32_e32 vcc, s0, v0
	s_and_saveexec_b64 s[2:3], vcc
	s_cbranch_execz .LBB64_2
; %bb.1:
	s_load_dwordx4 s[8:11], s[4:5], 0x0
	s_ashr_i32 s0, s7, 31
	v_ashrrev_i32_e32 v1, 31, v0
	v_lshlrev_b64 v[0:1], 4, v[0:1]
	s_waitcnt lgkmcnt(0)
	s_mul_i32 s3, s7, s11
	s_mul_hi_u32 s4, s7, s10
	s_mul_i32 s0, s0, s10
	s_add_i32 s3, s4, s3
	s_mul_i32 s2, s7, s10
	s_add_i32 s3, s3, s0
	s_lshl_b64 s[2:3], s[2:3], 4
	s_add_u32 s0, s8, s2
	s_addc_u32 s2, s9, s3
	v_mov_b32_e32 v2, s2
	v_add_co_u32_e32 v4, vcc, s0, v0
	v_addc_co_u32_e32 v5, vcc, v2, v1, vcc
	v_mov_b32_e32 v2, 0
	v_cvt_f64_i32_e32 v[0:1], s1
	v_mov_b32_e32 v3, v2
	global_store_dwordx4 v[4:5], v[0:3], off
.LBB64_2:
	s_endpgm
	.section	.rodata,"a",@progbits
	.p2align	6, 0x0
	.amdhsa_kernel _ZN9rocsolver6v33100L16reset_batch_infoI19rocblas_complex_numIdEiiPS3_EEvT2_lT0_T1_
		.amdhsa_group_segment_fixed_size 0
		.amdhsa_private_segment_fixed_size 0
		.amdhsa_kernarg_size 280
		.amdhsa_user_sgpr_count 6
		.amdhsa_user_sgpr_private_segment_buffer 1
		.amdhsa_user_sgpr_dispatch_ptr 0
		.amdhsa_user_sgpr_queue_ptr 0
		.amdhsa_user_sgpr_kernarg_segment_ptr 1
		.amdhsa_user_sgpr_dispatch_id 0
		.amdhsa_user_sgpr_flat_scratch_init 0
		.amdhsa_user_sgpr_kernarg_preload_length 0
		.amdhsa_user_sgpr_kernarg_preload_offset 0
		.amdhsa_user_sgpr_private_segment_size 0
		.amdhsa_uses_dynamic_stack 0
		.amdhsa_system_sgpr_private_segment_wavefront_offset 0
		.amdhsa_system_sgpr_workgroup_id_x 1
		.amdhsa_system_sgpr_workgroup_id_y 1
		.amdhsa_system_sgpr_workgroup_id_z 0
		.amdhsa_system_sgpr_workgroup_info 0
		.amdhsa_system_vgpr_workitem_id 0
		.amdhsa_next_free_vgpr 6
		.amdhsa_next_free_sgpr 12
		.amdhsa_accum_offset 8
		.amdhsa_reserve_vcc 1
		.amdhsa_reserve_flat_scratch 0
		.amdhsa_float_round_mode_32 0
		.amdhsa_float_round_mode_16_64 0
		.amdhsa_float_denorm_mode_32 3
		.amdhsa_float_denorm_mode_16_64 3
		.amdhsa_dx10_clamp 1
		.amdhsa_ieee_mode 1
		.amdhsa_fp16_overflow 0
		.amdhsa_tg_split 0
		.amdhsa_exception_fp_ieee_invalid_op 0
		.amdhsa_exception_fp_denorm_src 0
		.amdhsa_exception_fp_ieee_div_zero 0
		.amdhsa_exception_fp_ieee_overflow 0
		.amdhsa_exception_fp_ieee_underflow 0
		.amdhsa_exception_fp_ieee_inexact 0
		.amdhsa_exception_int_div_zero 0
	.end_amdhsa_kernel
	.section	.text._ZN9rocsolver6v33100L16reset_batch_infoI19rocblas_complex_numIdEiiPS3_EEvT2_lT0_T1_,"axG",@progbits,_ZN9rocsolver6v33100L16reset_batch_infoI19rocblas_complex_numIdEiiPS3_EEvT2_lT0_T1_,comdat
.Lfunc_end64:
	.size	_ZN9rocsolver6v33100L16reset_batch_infoI19rocblas_complex_numIdEiiPS3_EEvT2_lT0_T1_, .Lfunc_end64-_ZN9rocsolver6v33100L16reset_batch_infoI19rocblas_complex_numIdEiiPS3_EEvT2_lT0_T1_
                                        ; -- End function
	.section	.AMDGPU.csdata,"",@progbits
; Kernel info:
; codeLenInByte = 148
; NumSgprs: 16
; NumVgprs: 6
; NumAgprs: 0
; TotalNumVgprs: 6
; ScratchSize: 0
; MemoryBound: 0
; FloatMode: 240
; IeeeMode: 1
; LDSByteSize: 0 bytes/workgroup (compile time only)
; SGPRBlocks: 1
; VGPRBlocks: 0
; NumSGPRsForWavesPerEU: 16
; NumVGPRsForWavesPerEU: 6
; AccumOffset: 8
; Occupancy: 8
; WaveLimiterHint : 0
; COMPUTE_PGM_RSRC2:SCRATCH_EN: 0
; COMPUTE_PGM_RSRC2:USER_SGPR: 6
; COMPUTE_PGM_RSRC2:TRAP_HANDLER: 0
; COMPUTE_PGM_RSRC2:TGID_X_EN: 1
; COMPUTE_PGM_RSRC2:TGID_Y_EN: 1
; COMPUTE_PGM_RSRC2:TGID_Z_EN: 0
; COMPUTE_PGM_RSRC2:TIDIG_COMP_CNT: 0
; COMPUTE_PGM_RSRC3_GFX90A:ACCUM_OFFSET: 1
; COMPUTE_PGM_RSRC3_GFX90A:TG_SPLIT: 0
	.section	.text._ZN9rocsolver6v33100L10init_identI19rocblas_complex_numIdEPS3_EEviiT0_iil,"axG",@progbits,_ZN9rocsolver6v33100L10init_identI19rocblas_complex_numIdEPS3_EEviiT0_iil,comdat
	.globl	_ZN9rocsolver6v33100L10init_identI19rocblas_complex_numIdEPS3_EEviiT0_iil ; -- Begin function _ZN9rocsolver6v33100L10init_identI19rocblas_complex_numIdEPS3_EEviiT0_iil
	.p2align	8
	.type	_ZN9rocsolver6v33100L10init_identI19rocblas_complex_numIdEPS3_EEviiT0_iil,@function
_ZN9rocsolver6v33100L10init_identI19rocblas_complex_numIdEPS3_EEviiT0_iil: ; @_ZN9rocsolver6v33100L10init_identI19rocblas_complex_numIdEPS3_EEviiT0_iil
; %bb.0:
	s_load_dword s2, s[4:5], 0x2c
	s_load_dwordx2 s[0:1], s[4:5], 0x0
	v_and_b32_e32 v1, 0x3ff, v0
	v_bfe_u32 v0, v0, 10, 10
	s_waitcnt lgkmcnt(0)
	s_lshr_b32 s3, s2, 16
	s_and_b32 s2, s2, 0xffff
	s_mul_i32 s6, s6, s2
	s_mul_i32 s7, s7, s3
	v_add_u32_e32 v4, s6, v1
	v_add_u32_e32 v0, s7, v0
	v_cmp_gt_u32_e32 vcc, s0, v4
	v_cmp_gt_u32_e64 s[0:1], s1, v0
	s_and_b64 s[0:1], vcc, s[0:1]
	s_and_saveexec_b64 s[2:3], s[0:1]
	s_cbranch_execz .LBB65_6
; %bb.1:
	s_load_dwordx2 s[0:1], s[4:5], 0x10
	v_cmp_ne_u32_e32 vcc, v4, v0
                                        ; implicit-def: $sgpr2_sgpr3
                                        ; implicit-def: $vgpr2
	s_and_saveexec_b64 s[6:7], vcc
	s_xor_b64 s[6:7], exec, s[6:7]
	s_cbranch_execz .LBB65_3
; %bb.2:
	s_waitcnt lgkmcnt(0)
	v_mad_u64_u32 v[2:3], s[2:3], v0, s1, v[4:5]
	s_mov_b64 s[2:3], 0
                                        ; implicit-def: $vgpr4
.LBB65_3:
	s_or_saveexec_b64 s[6:7], s[6:7]
	v_pk_mov_b32 v[0:1], s[2:3], s[2:3] op_sel:[0,1]
	s_xor_b64 exec, exec, s[6:7]
	s_cbranch_execz .LBB65_5
; %bb.4:
	v_mov_b32_e32 v0, 0
	s_waitcnt lgkmcnt(0)
	v_mad_u64_u32 v[2:3], s[2:3], v4, s1, v[4:5]
	v_mov_b32_e32 v1, 0x3ff00000
.LBB65_5:
	s_or_b64 exec, exec, s[6:7]
	s_load_dwordx2 s[2:3], s[4:5], 0x18
	s_load_dwordx2 s[6:7], s[4:5], 0x8
	s_waitcnt lgkmcnt(0)
	s_ashr_i32 s1, s0, 31
	v_mov_b32_e32 v3, 0
	v_lshlrev_b64 v[4:5], 4, v[2:3]
	s_mul_i32 s3, s8, s3
	s_mul_hi_u32 s4, s8, s2
	s_mul_i32 s2, s8, s2
	s_add_i32 s3, s4, s3
	s_lshl_b64 s[2:3], s[2:3], 4
	s_add_u32 s2, s6, s2
	s_addc_u32 s3, s7, s3
	s_lshl_b64 s[0:1], s[0:1], 4
	s_add_u32 s0, s2, s0
	s_addc_u32 s1, s3, s1
	v_mov_b32_e32 v2, s1
	v_add_co_u32_e32 v4, vcc, s0, v4
	v_addc_co_u32_e32 v5, vcc, v2, v5, vcc
	v_mov_b32_e32 v2, v3
	global_store_dwordx4 v[4:5], v[0:3], off
.LBB65_6:
	s_endpgm
	.section	.rodata,"a",@progbits
	.p2align	6, 0x0
	.amdhsa_kernel _ZN9rocsolver6v33100L10init_identI19rocblas_complex_numIdEPS3_EEviiT0_iil
		.amdhsa_group_segment_fixed_size 0
		.amdhsa_private_segment_fixed_size 0
		.amdhsa_kernarg_size 288
		.amdhsa_user_sgpr_count 6
		.amdhsa_user_sgpr_private_segment_buffer 1
		.amdhsa_user_sgpr_dispatch_ptr 0
		.amdhsa_user_sgpr_queue_ptr 0
		.amdhsa_user_sgpr_kernarg_segment_ptr 1
		.amdhsa_user_sgpr_dispatch_id 0
		.amdhsa_user_sgpr_flat_scratch_init 0
		.amdhsa_user_sgpr_kernarg_preload_length 0
		.amdhsa_user_sgpr_kernarg_preload_offset 0
		.amdhsa_user_sgpr_private_segment_size 0
		.amdhsa_uses_dynamic_stack 0
		.amdhsa_system_sgpr_private_segment_wavefront_offset 0
		.amdhsa_system_sgpr_workgroup_id_x 1
		.amdhsa_system_sgpr_workgroup_id_y 1
		.amdhsa_system_sgpr_workgroup_id_z 1
		.amdhsa_system_sgpr_workgroup_info 0
		.amdhsa_system_vgpr_workitem_id 1
		.amdhsa_next_free_vgpr 6
		.amdhsa_next_free_sgpr 9
		.amdhsa_accum_offset 8
		.amdhsa_reserve_vcc 1
		.amdhsa_reserve_flat_scratch 0
		.amdhsa_float_round_mode_32 0
		.amdhsa_float_round_mode_16_64 0
		.amdhsa_float_denorm_mode_32 3
		.amdhsa_float_denorm_mode_16_64 3
		.amdhsa_dx10_clamp 1
		.amdhsa_ieee_mode 1
		.amdhsa_fp16_overflow 0
		.amdhsa_tg_split 0
		.amdhsa_exception_fp_ieee_invalid_op 0
		.amdhsa_exception_fp_denorm_src 0
		.amdhsa_exception_fp_ieee_div_zero 0
		.amdhsa_exception_fp_ieee_overflow 0
		.amdhsa_exception_fp_ieee_underflow 0
		.amdhsa_exception_fp_ieee_inexact 0
		.amdhsa_exception_int_div_zero 0
	.end_amdhsa_kernel
	.section	.text._ZN9rocsolver6v33100L10init_identI19rocblas_complex_numIdEPS3_EEviiT0_iil,"axG",@progbits,_ZN9rocsolver6v33100L10init_identI19rocblas_complex_numIdEPS3_EEviiT0_iil,comdat
.Lfunc_end65:
	.size	_ZN9rocsolver6v33100L10init_identI19rocblas_complex_numIdEPS3_EEviiT0_iil, .Lfunc_end65-_ZN9rocsolver6v33100L10init_identI19rocblas_complex_numIdEPS3_EEviiT0_iil
                                        ; -- End function
	.section	.AMDGPU.csdata,"",@progbits
; Kernel info:
; codeLenInByte = 280
; NumSgprs: 13
; NumVgprs: 6
; NumAgprs: 0
; TotalNumVgprs: 6
; ScratchSize: 0
; MemoryBound: 0
; FloatMode: 240
; IeeeMode: 1
; LDSByteSize: 0 bytes/workgroup (compile time only)
; SGPRBlocks: 1
; VGPRBlocks: 0
; NumSGPRsForWavesPerEU: 13
; NumVGPRsForWavesPerEU: 6
; AccumOffset: 8
; Occupancy: 8
; WaveLimiterHint : 0
; COMPUTE_PGM_RSRC2:SCRATCH_EN: 0
; COMPUTE_PGM_RSRC2:USER_SGPR: 6
; COMPUTE_PGM_RSRC2:TRAP_HANDLER: 0
; COMPUTE_PGM_RSRC2:TGID_X_EN: 1
; COMPUTE_PGM_RSRC2:TGID_Y_EN: 1
; COMPUTE_PGM_RSRC2:TGID_Z_EN: 1
; COMPUTE_PGM_RSRC2:TIDIG_COMP_CNT: 1
; COMPUTE_PGM_RSRC3_GFX90A:ACCUM_OFFSET: 1
; COMPUTE_PGM_RSRC3_GFX90A:TG_SPLIT: 0
	.section	.text._ZN9rocsolver6v33100L11lasr_kernelI19rocblas_complex_numIdEdPS3_iEEv13rocblas_side_14rocblas_pivot_15rocblas_direct_T2_S8_PT0_lSA_lT1_lS8_lS8_,"axG",@progbits,_ZN9rocsolver6v33100L11lasr_kernelI19rocblas_complex_numIdEdPS3_iEEv13rocblas_side_14rocblas_pivot_15rocblas_direct_T2_S8_PT0_lSA_lT1_lS8_lS8_,comdat
	.globl	_ZN9rocsolver6v33100L11lasr_kernelI19rocblas_complex_numIdEdPS3_iEEv13rocblas_side_14rocblas_pivot_15rocblas_direct_T2_S8_PT0_lSA_lT1_lS8_lS8_ ; -- Begin function _ZN9rocsolver6v33100L11lasr_kernelI19rocblas_complex_numIdEdPS3_iEEv13rocblas_side_14rocblas_pivot_15rocblas_direct_T2_S8_PT0_lSA_lT1_lS8_lS8_
	.p2align	8
	.type	_ZN9rocsolver6v33100L11lasr_kernelI19rocblas_complex_numIdEdPS3_iEEv13rocblas_side_14rocblas_pivot_15rocblas_direct_T2_S8_PT0_lSA_lT1_lS8_lS8_,@function
_ZN9rocsolver6v33100L11lasr_kernelI19rocblas_complex_numIdEdPS3_iEEv13rocblas_side_14rocblas_pivot_15rocblas_direct_T2_S8_PT0_lSA_lT1_lS8_lS8_: ; @_ZN9rocsolver6v33100L11lasr_kernelI19rocblas_complex_numIdEdPS3_iEEv13rocblas_side_14rocblas_pivot_15rocblas_direct_T2_S8_PT0_lSA_lT1_lS8_lS8_
; %bb.0:
	s_load_dword s33, s[4:5], 0x58
	s_waitcnt lgkmcnt(0)
	s_cmp_ge_u32 s7, s33
	s_cbranch_scc1 .LBB66_98
; %bb.1:
	s_load_dwordx4 s[0:3], s[4:5], 0x38
	s_load_dword s20, s[4:5], 0x48
	s_load_dwordx2 s[22:23], s[4:5], 0x50
	s_load_dword s26, s[4:5], 0x60
	s_load_dwordx2 s[24:25], s[4:5], 0x68
	s_load_dwordx4 s[16:19], s[4:5], 0x0
	s_load_dword s86, s[4:5], 0x10
	s_load_dwordx8 s[8:15], s[4:5], 0x18
	s_waitcnt lgkmcnt(0)
	s_ashr_i32 s21, s20, 31
	s_and_b32 s5, s25, 0xffff
	s_mul_i32 s6, s6, s5
	s_lshl_b64 s[2:3], s[2:3], 4
	v_add_u32_e32 v4, s6, v0
	s_add_u32 s6, s0, s2
	s_addc_u32 s25, s1, s3
	s_cmpk_lg_i32 s16, 0x8d
	s_cselect_b64 s[38:39], -1, 0
	s_cmpk_lg_i32 s16, 0x8e
	s_cselect_b64 s[44:45], -1, 0
	;; [unrolled: 2-line block ×6, first 2 shown]
	s_or_b64 s[28:29], s[38:39], s[42:43]
	s_or_b64 s[16:17], s[28:29], s[52:53]
	s_xor_b64 s[16:17], s[16:17], -1
	s_ashr_i32 s27, s19, 31
	s_add_i32 s62, s19, -2
	s_cmpk_lg_i32 s18, 0xac
	s_cselect_b64 s[54:55], -1, 0
	s_or_b64 s[28:29], s[28:29], s[54:55]
	s_xor_b64 s[28:29], s[28:29], -1
	s_cmp_gt_i32 s19, 1
	s_cselect_b64 s[30:31], -1, 0
	s_or_b64 s[36:37], s[38:39], s[50:51]
	s_or_b64 s[40:41], s[38:39], s[48:49]
	;; [unrolled: 1-line block ×9, first 2 shown]
	s_xor_b64 s[34:35], s[34:35], -1
	s_xor_b64 s[36:37], s[36:37], -1
	;; [unrolled: 1-line block ×5, first 2 shown]
	s_add_i32 s18, s86, -1
	s_xor_b64 s[46:47], s[46:47], -1
                                        ; implicit-def: $vgpr41 : SGPR spill to VGPR lane
	s_add_i32 s68, s86, -2
	v_writelane_b32 v41, s46, 0
	s_cmp_gt_i32 s86, 1
	v_writelane_b32 v41, s47, 1
	s_cselect_b64 s[46:47], -1, 0
	s_or_b64 s[50:51], s[44:45], s[50:51]
	s_or_b64 s[56:57], s[50:51], s[52:53]
	s_xor_b64 s[56:57], s[56:57], -1
	v_writelane_b32 v41, s56, 2
	s_or_b64 s[50:51], s[50:51], s[54:55]
	v_writelane_b32 v41, s57, 3
	s_xor_b64 s[50:51], s[50:51], -1
	s_or_b64 s[44:45], s[44:45], s[48:49]
	v_writelane_b32 v41, s50, 4
	s_or_b64 s[48:49], s[44:45], s[52:53]
	v_writelane_b32 v41, s51, 5
	s_xor_b64 s[48:49], s[48:49], -1
	v_writelane_b32 v41, s48, 6
	v_cmp_le_i32_e32 vcc, s19, v4
	v_writelane_b32 v41, s49, 7
	s_or_b64 s[48:49], s[54:55], vcc
	s_or_b64 s[44:45], s[44:45], s[48:49]
	s_xor_b64 s[44:45], s[44:45], -1
	s_mul_i32 s4, s26, s5
	v_writelane_b32 v41, s44, 8
	v_writelane_b32 v41, s45, 9
	s_mul_hi_i32 s45, s20, s4
	s_mul_i32 s44, s20, s4
	s_mov_b32 s63, 0
	s_add_i32 s56, s19, -1
	s_lshl_b64 s[14:15], s[14:15], 3
	s_lshl_b64 s[10:11], s[10:11], 3
	;; [unrolled: 1-line block ×3, first 2 shown]
	s_ashr_i32 s5, s4, 31
	s_lshl_b64 s[60:61], s[44:45], 4
	s_lshl_b64 s[44:45], s[62:63], 3
	s_add_u32 s87, s8, s44
	s_addc_u32 s88, s9, s45
	s_add_u32 s89, s12, s44
	s_mul_i32 s26, s21, s68
	s_mul_hi_u32 s48, s20, s68
	s_addc_u32 s90, s13, s45
	s_mov_b32 s57, s63
	s_add_i32 s49, s48, s26
	s_mul_i32 s48, s20, s68
	s_mov_b32 s69, s63
	s_lshl_b64 s[44:45], s[62:63], 4
	s_lshl_b64 s[48:49], s[48:49], 4
	s_add_i32 s91, s19, 1
	s_lshl_b64 s[50:51], s[56:57], 4
	s_lshl_b64 s[62:63], s[4:5], 4
	;; [unrolled: 1-line block ×3, first 2 shown]
	s_add_u32 s5, s48, s2
	s_addc_u32 s26, s49, s3
	s_add_u32 s52, s0, s5
	s_mul_i32 s5, s21, s18
	s_mul_hi_u32 s21, s20, s18
	s_mul_i32 s66, s20, s18
	s_addc_u32 s26, s1, s26
	s_add_i32 s49, s21, s5
	s_mov_b32 s48, s66
	s_lshl_b64 s[48:49], s[48:49], 4
	s_add_u32 s5, s48, s2
	s_addc_u32 s21, s49, s3
	s_add_u32 s53, s0, s5
	s_addc_u32 s54, s1, s21
	s_lshl_b64 s[48:49], s[68:69], 3
	s_add_u32 s5, s8, s48
	s_addc_u32 s21, s9, s49
	s_add_u32 s57, s12, s48
	s_addc_u32 s92, s13, s49
	;; [unrolled: 2-line block ×4, first 2 shown]
	v_mad_i64_i32 v[0:1], s[0:1], s20, v4, 0
	v_lshlrev_b64 v[0:1], 4, v[0:1]
	v_mov_b32_e32 v2, s25
	v_add_co_u32_e32 v0, vcc, s6, v0
	v_addc_co_u32_e32 v1, vcc, v2, v1, vcc
	v_add_co_u32_e32 v18, vcc, 24, v0
	v_addc_co_u32_e32 v19, vcc, 0, v1, vcc
	v_mov_b32_e32 v2, s45
	v_add_co_u32_e32 v20, vcc, s44, v0
	v_addc_co_u32_e32 v21, vcc, v1, v2, vcc
	v_add_co_u32_e32 v22, vcc, 16, v0
	v_addc_co_u32_e32 v23, vcc, 0, v1, vcc
	v_add_co_u32_e32 v24, vcc, 8, v0
	v_addc_co_u32_e32 v25, vcc, 0, v1, vcc
	v_mov_b32_e32 v0, s51
	v_add_co_u32_e32 v26, vcc, s50, v24
	v_addc_co_u32_e32 v27, vcc, v25, v0, vcc
	v_add_co_u32_e32 v28, vcc, 8, v20
	v_ashrrev_i32_e32 v5, 31, v4
	v_addc_co_u32_e32 v29, vcc, 0, v21, vcc
	v_lshlrev_b64 v[0:1], 4, v[4:5]
	v_mov_b32_e32 v2, s25
	v_add_co_u32_e32 v3, vcc, s6, v0
	v_addc_co_u32_e32 v2, vcc, v2, v1, vcc
	v_add_co_u32_e32 v30, vcc, 8, v3
	v_addc_co_u32_e32 v31, vcc, 0, v2, vcc
	v_mov_b32_e32 v2, s26
	v_add_co_u32_e32 v32, vcc, s52, v0
	v_addc_co_u32_e32 v33, vcc, v2, v1, vcc
	v_mov_b32_e32 v2, s54
	v_add_co_u32_e32 v3, vcc, s53, v0
	v_addc_co_u32_e32 v2, vcc, v2, v1, vcc
	v_add_co_u32_e32 v34, vcc, 8, v3
	v_addc_co_u32_e32 v35, vcc, 0, v2, vcc
	v_mov_b32_e32 v2, s3
	v_add_co_u32_e32 v0, vcc, s2, v0
	v_addc_co_u32_e32 v1, vcc, v2, v1, vcc
	v_add_co_u32_e32 v36, vcc, 8, v0
	v_addc_co_u32_e32 v37, vcc, 0, v1, vcc
	s_add_i32 s93, s86, 1
	v_add_co_u32_e32 v38, vcc, 8, v32
	s_sub_u32 s94, 0, s64
	v_addc_co_u32_e32 v39, vcc, 0, v33, vcc
	s_mov_b32 s26, s19
	s_mul_hi_i32 s67, s20, s18
	v_mov_b32_e32 v40, 0
	s_subb_u32 s95, 0, s65
	v_cmp_gt_i32_e64 s[0:1], s86, v4
	v_cmp_gt_i32_e64 s[2:3], s19, v4
	s_branch .LBB66_4
.LBB66_2:                               ;   in Loop: Header=BB66_4 Depth=1
	s_or_b64 exec, exec, s[68:69]
.LBB66_3:                               ;   in Loop: Header=BB66_4 Depth=1
	s_add_i32 s7, s7, s24
	s_cmp_ge_u32 s7, s33
	s_cbranch_scc1 .LBB66_98
.LBB66_4:                               ; =>This Loop Header: Depth=1
                                        ;     Child Loop BB66_8 Depth 2
                                        ;       Child Loop BB66_9 Depth 3
                                        ;     Child Loop BB66_16 Depth 2
                                        ;       Child Loop BB66_17 Depth 3
	;; [unrolled: 2-line block ×12, first 2 shown]
	s_mul_i32 s44, s11, s7
	s_mul_hi_u32 s45, s10, s7
	s_add_i32 s84, s45, s44
	s_mul_i32 s44, s15, s7
	s_mul_hi_u32 s45, s14, s7
	s_add_i32 s50, s45, s44
	s_mul_i32 s44, s59, s7
	s_mul_hi_u32 s54, s58, s7
	s_mul_i32 s85, s10, s7
	s_add_i32 s54, s54, s44
	s_add_u32 s68, s8, s85
	s_mul_i32 s51, s14, s7
	s_addc_u32 s69, s9, s84
	s_add_u32 s70, s12, s51
	s_mul_i32 s44, s7, s23
	s_mul_hi_u32 s45, s7, s22
	s_addc_u32 s71, s13, s50
	s_add_i32 s45, s45, s44
	s_mul_i32 s44, s7, s22
	s_lshl_b64 s[44:45], s[44:45], 4
	s_add_u32 s52, s6, s44
	s_mul_i32 s55, s58, s7
	s_addc_u32 s53, s25, s45
	s_andn2_b64 vcc, exec, s[16:17]
	s_mov_b64 s[72:73], -1
	s_cbranch_vccnz .LBB66_11
; %bb.5:                                ;   in Loop: Header=BB66_4 Depth=1
	s_and_saveexec_b64 s[72:73], s[0:1]
	s_cbranch_execz .LBB66_10
; %bb.6:                                ;   in Loop: Header=BB66_4 Depth=1
	s_lshl_b64 s[44:45], s[26:27], 4
	v_mov_b32_e32 v0, s54
	v_add_co_u32_e32 v6, vcc, s55, v18
	s_add_u32 s48, s52, s44
	v_addc_co_u32_e32 v7, vcc, v19, v0, vcc
	s_addc_u32 s49, s53, s45
	s_mov_b64 s[74:75], 0
	v_mov_b32_e32 v5, s53
	v_mov_b32_e32 v12, v4
	s_branch .LBB66_8
.LBB66_7:                               ;   in Loop: Header=BB66_8 Depth=2
	v_mov_b32_e32 v10, s49
	v_add_co_u32_e32 v8, vcc, s48, v8
	v_addc_co_u32_e32 v9, vcc, v10, v9, vcc
	v_add_u32_e32 v12, s4, v12
	v_cmp_le_i32_e32 vcc, s86, v12
	s_waitcnt vmcnt(0)
	global_store_dwordx4 v[8:9], v[0:3], off offset:-16
	s_or_b64 s[74:75], vcc, s[74:75]
	v_mov_b32_e32 v0, s61
	v_add_co_u32_e32 v6, vcc, s60, v6
	v_addc_co_u32_e32 v7, vcc, v7, v0, vcc
	s_andn2_b64 exec, exec, s[74:75]
	s_cbranch_execz .LBB66_10
.LBB66_8:                               ;   Parent Loop BB66_4 Depth=1
                                        ; =>  This Loop Header: Depth=2
                                        ;       Child Loop BB66_9 Depth 3
	v_mad_i64_i32 v[0:1], s[44:45], v12, s20, 0
	v_lshlrev_b64 v[8:9], 4, v[0:1]
	v_add_co_u32_e32 v0, vcc, s52, v8
	v_addc_co_u32_e32 v1, vcc, v5, v9, vcc
	global_load_dwordx4 v[0:3], v[0:1], off
	s_andn2_b64 vcc, exec, s[30:31]
	v_pk_mov_b32 v[10:11], v[6:7], v[6:7] op_sel:[0,1]
	s_mov_b64 s[76:77], s[68:69]
	s_mov_b64 s[78:79], s[70:71]
	s_mov_b32 s44, s56
	s_cbranch_vccnz .LBB66_7
.LBB66_9:                               ;   Parent Loop BB66_4 Depth=1
                                        ;     Parent Loop BB66_8 Depth=2
                                        ; =>    This Inner Loop Header: Depth=3
	global_load_dwordx2 v[46:47], v40, s[78:79]
	global_load_dwordx4 v[14:17], v[10:11], off offset:-8
	global_load_dwordx2 v[48:49], v40, s[76:77]
	s_add_i32 s44, s44, -1
	s_add_u32 s78, s78, 8
	s_addc_u32 s79, s79, 0
	s_add_u32 s76, s76, 8
	s_addc_u32 s77, s77, 0
	s_cmp_eq_u32 s44, 0
	s_waitcnt vmcnt(2)
	v_mul_f64 v[50:51], v[0:1], v[46:47]
	s_waitcnt vmcnt(1)
	v_mul_f64 v[42:43], v[46:47], v[14:15]
	v_mul_f64 v[44:45], v[46:47], v[16:17]
	s_waitcnt vmcnt(0)
	v_fmac_f64_e32 v[42:43], v[0:1], v[48:49]
	v_fmac_f64_e32 v[44:45], v[2:3], v[48:49]
	v_mul_f64 v[46:47], v[2:3], v[46:47]
	global_store_dwordx4 v[10:11], v[42:45], off offset:-24
	v_add_co_u32_e32 v10, vcc, 16, v10
	v_fma_f64 v[0:1], v[48:49], v[14:15], -v[50:51]
	v_fma_f64 v[2:3], v[48:49], v[16:17], -v[46:47]
	v_addc_co_u32_e32 v11, vcc, 0, v11, vcc
	s_cbranch_scc0 .LBB66_9
	s_branch .LBB66_7
.LBB66_10:                              ;   in Loop: Header=BB66_4 Depth=1
	s_or_b64 exec, exec, s[72:73]
	s_mov_b64 s[72:73], 0
.LBB66_11:                              ;   in Loop: Header=BB66_4 Depth=1
	s_andn2_b64 vcc, exec, s[72:73]
	s_cbranch_vccnz .LBB66_3
; %bb.12:                               ;   in Loop: Header=BB66_4 Depth=1
	s_add_u32 s72, s87, s85
	s_addc_u32 s73, s88, s84
	s_add_u32 s74, s89, s51
	s_addc_u32 s75, s90, s50
	s_andn2_b64 vcc, exec, s[28:29]
	s_mov_b64 s[76:77], -1
	s_cbranch_vccnz .LBB66_19
; %bb.13:                               ;   in Loop: Header=BB66_4 Depth=1
	s_and_saveexec_b64 s[76:77], s[0:1]
	s_cbranch_execz .LBB66_18
; %bb.14:                               ;   in Loop: Header=BB66_4 Depth=1
	s_lshl_b64 s[44:45], s[26:27], 4
	v_mov_b32_e32 v0, s54
	v_add_co_u32_e32 v6, vcc, s55, v20
	s_add_u32 s48, s52, s44
	v_addc_co_u32_e32 v7, vcc, v21, v0, vcc
	s_addc_u32 s49, s53, s45
	s_mov_b64 s[78:79], 0
	v_mov_b32_e32 v5, v4
	s_branch .LBB66_16
.LBB66_15:                              ;   in Loop: Header=BB66_16 Depth=2
	v_mov_b32_e32 v10, s53
	v_add_co_u32_e32 v8, vcc, s52, v8
	v_addc_co_u32_e32 v9, vcc, v10, v9, vcc
	v_add_u32_e32 v5, s4, v5
	v_cmp_le_i32_e32 vcc, s86, v5
	s_waitcnt vmcnt(0)
	global_store_dwordx4 v[8:9], v[0:3], off
	s_or_b64 s[78:79], vcc, s[78:79]
	v_mov_b32_e32 v0, s61
	v_add_co_u32_e32 v6, vcc, s60, v6
	v_addc_co_u32_e32 v7, vcc, v7, v0, vcc
	s_andn2_b64 exec, exec, s[78:79]
	s_cbranch_execz .LBB66_18
.LBB66_16:                              ;   Parent Loop BB66_4 Depth=1
                                        ; =>  This Loop Header: Depth=2
                                        ;       Child Loop BB66_17 Depth 3
	v_mad_i64_i32 v[0:1], s[44:45], v5, s20, 0
	v_lshlrev_b64 v[8:9], 4, v[0:1]
	v_mov_b32_e32 v1, s49
	v_add_co_u32_e32 v0, vcc, s48, v8
	v_addc_co_u32_e32 v1, vcc, v1, v9, vcc
	global_load_dwordx4 v[0:3], v[0:1], off offset:-16
	s_andn2_b64 vcc, exec, s[30:31]
	v_pk_mov_b32 v[10:11], v[6:7], v[6:7] op_sel:[0,1]
	s_mov_b64 s[80:81], s[74:75]
	s_mov_b64 s[82:83], s[72:73]
	s_mov_b32 s44, s56
	s_cbranch_vccnz .LBB66_15
.LBB66_17:                              ;   Parent Loop BB66_4 Depth=1
                                        ;     Parent Loop BB66_16 Depth=2
                                        ; =>    This Inner Loop Header: Depth=3
	global_load_dwordx4 v[12:15], v[10:11], off
	global_load_dwordx2 v[16:17], v40, s[80:81]
	global_load_dwordx2 v[42:43], v40, s[82:83]
	s_add_i32 s44, s44, -1
	s_add_u32 s82, s82, -8
	s_waitcnt vmcnt(3)
	v_pk_mov_b32 v[44:45], v[2:3], v[2:3] op_sel:[0,1]
	v_pk_mov_b32 v[46:47], v[0:1], v[0:1] op_sel:[0,1]
	s_addc_u32 s83, s83, -1
	s_add_u32 s80, s80, -8
	s_addc_u32 s81, s81, -1
	s_cmp_eq_u32 s44, 0
	s_waitcnt vmcnt(1)
	v_mul_f64 v[48:49], v[16:17], v[12:13]
	v_mul_f64 v[50:51], v[16:17], v[14:15]
	s_waitcnt vmcnt(0)
	v_mul_f64 v[0:1], v[42:43], v[12:13]
	v_mul_f64 v[2:3], v[42:43], v[14:15]
	v_fma_f64 v[12:13], v[46:47], v[42:43], -v[48:49]
	v_fma_f64 v[14:15], v[44:45], v[42:43], -v[50:51]
	global_store_dwordx4 v[10:11], v[12:15], off offset:16
	v_add_co_u32_e32 v10, vcc, -16, v10
	v_fmac_f64_e32 v[0:1], v[46:47], v[16:17]
	v_fmac_f64_e32 v[2:3], v[44:45], v[16:17]
	v_addc_co_u32_e32 v11, vcc, -1, v11, vcc
	s_cbranch_scc0 .LBB66_17
	s_branch .LBB66_15
.LBB66_18:                              ;   in Loop: Header=BB66_4 Depth=1
	s_or_b64 exec, exec, s[76:77]
	s_mov_b64 s[76:77], 0
.LBB66_19:                              ;   in Loop: Header=BB66_4 Depth=1
	s_andn2_b64 vcc, exec, s[76:77]
	s_cbranch_vccnz .LBB66_3
; %bb.20:                               ;   in Loop: Header=BB66_4 Depth=1
	s_andn2_b64 vcc, exec, s[34:35]
	s_mov_b64 s[76:77], -1
	s_cbranch_vccnz .LBB66_27
; %bb.21:                               ;   in Loop: Header=BB66_4 Depth=1
	s_and_saveexec_b64 s[76:77], s[0:1]
	s_cbranch_execz .LBB66_26
; %bb.22:                               ;   in Loop: Header=BB66_4 Depth=1
	v_mov_b32_e32 v0, s54
	v_add_co_u32_e32 v6, vcc, s55, v22
	v_addc_co_u32_e32 v7, vcc, v23, v0, vcc
	s_mov_b64 s[78:79], 0
	v_mov_b32_e32 v5, v4
	s_branch .LBB66_24
.LBB66_23:                              ;   in Loop: Header=BB66_24 Depth=2
	v_add_u32_e32 v5, s4, v5
	v_cmp_le_i32_e32 vcc, s86, v5
	s_waitcnt vmcnt(0)
	global_store_dwordx4 v[8:9], v[0:3], off
	s_or_b64 s[78:79], vcc, s[78:79]
	v_mov_b32_e32 v0, s61
	v_add_co_u32_e32 v6, vcc, s60, v6
	v_addc_co_u32_e32 v7, vcc, v7, v0, vcc
	s_andn2_b64 exec, exec, s[78:79]
	s_cbranch_execz .LBB66_26
.LBB66_24:                              ;   Parent Loop BB66_4 Depth=1
                                        ; =>  This Loop Header: Depth=2
                                        ;       Child Loop BB66_25 Depth 3
	v_mad_i64_i32 v[0:1], s[44:45], v5, s20, 0
	v_lshlrev_b64 v[0:1], 4, v[0:1]
	v_mov_b32_e32 v2, s53
	v_add_co_u32_e32 v8, vcc, s52, v0
	v_addc_co_u32_e32 v9, vcc, v2, v1, vcc
	global_load_dwordx4 v[0:3], v[8:9], off
	s_andn2_b64 vcc, exec, s[30:31]
	v_pk_mov_b32 v[10:11], v[6:7], v[6:7] op_sel:[0,1]
	s_mov_b32 s48, s56
	s_mov_b64 s[80:81], s[68:69]
	s_mov_b64 s[82:83], s[70:71]
	s_cbranch_vccnz .LBB66_23
.LBB66_25:                              ;   Parent Loop BB66_4 Depth=1
                                        ;     Parent Loop BB66_24 Depth=2
                                        ; =>    This Inner Loop Header: Depth=3
	global_load_dwordx2 v[16:17], v40, s[82:83]
	global_load_dwordx4 v[12:15], v[10:11], off
	global_load_dwordx2 v[42:43], v40, s[80:81]
	s_waitcnt vmcnt(3)
	v_pk_mov_b32 v[44:45], v[2:3], v[2:3] op_sel:[0,1]
	v_pk_mov_b32 v[46:47], v[0:1], v[0:1] op_sel:[0,1]
	s_add_u32 s82, s82, 8
	s_addc_u32 s83, s83, 0
	s_add_u32 s80, s80, 8
	s_addc_u32 s81, s81, 0
	s_add_i32 s48, s48, -1
	s_cmp_eq_u32 s48, 0
	s_waitcnt vmcnt(2)
	v_mul_f64 v[48:49], v[46:47], v[16:17]
	v_mul_f64 v[50:51], v[44:45], v[16:17]
	s_waitcnt vmcnt(1)
	v_mul_f64 v[0:1], v[16:17], v[12:13]
	v_mul_f64 v[2:3], v[16:17], v[14:15]
	s_waitcnt vmcnt(0)
	v_fma_f64 v[12:13], v[42:43], v[12:13], -v[48:49]
	v_fma_f64 v[14:15], v[42:43], v[14:15], -v[50:51]
	global_store_dwordx4 v[10:11], v[12:15], off
	v_add_co_u32_e32 v10, vcc, 16, v10
	v_fmac_f64_e32 v[0:1], v[46:47], v[42:43]
	v_fmac_f64_e32 v[2:3], v[44:45], v[42:43]
	v_addc_co_u32_e32 v11, vcc, 0, v11, vcc
	s_cbranch_scc0 .LBB66_25
	s_branch .LBB66_23
.LBB66_26:                              ;   in Loop: Header=BB66_4 Depth=1
	s_or_b64 exec, exec, s[76:77]
	s_mov_b64 s[76:77], 0
.LBB66_27:                              ;   in Loop: Header=BB66_4 Depth=1
	s_andn2_b64 vcc, exec, s[76:77]
	s_cbranch_vccnz .LBB66_3
; %bb.28:                               ;   in Loop: Header=BB66_4 Depth=1
	s_andn2_b64 vcc, exec, s[36:37]
	s_mov_b64 s[76:77], -1
	s_cbranch_vccnz .LBB66_35
; %bb.29:                               ;   in Loop: Header=BB66_4 Depth=1
	s_and_saveexec_b64 s[76:77], s[0:1]
	s_cbranch_execz .LBB66_34
; %bb.30:                               ;   in Loop: Header=BB66_4 Depth=1
	v_mov_b32_e32 v0, s54
	v_add_co_u32_e32 v6, vcc, s55, v26
	v_addc_co_u32_e32 v7, vcc, v27, v0, vcc
	s_mov_b64 s[78:79], 0
	v_mov_b32_e32 v5, v4
	s_branch .LBB66_32
.LBB66_31:                              ;   in Loop: Header=BB66_32 Depth=2
	v_add_u32_e32 v5, s4, v5
	v_cmp_le_i32_e32 vcc, s86, v5
	s_waitcnt vmcnt(0)
	global_store_dwordx4 v[8:9], v[0:3], off
	s_or_b64 s[78:79], vcc, s[78:79]
	v_mov_b32_e32 v0, s61
	v_add_co_u32_e32 v6, vcc, s60, v6
	v_addc_co_u32_e32 v7, vcc, v7, v0, vcc
	s_andn2_b64 exec, exec, s[78:79]
	s_cbranch_execz .LBB66_34
.LBB66_32:                              ;   Parent Loop BB66_4 Depth=1
                                        ; =>  This Loop Header: Depth=2
                                        ;       Child Loop BB66_33 Depth 3
	v_mad_i64_i32 v[0:1], s[44:45], v5, s20, 0
	v_lshlrev_b64 v[0:1], 4, v[0:1]
	v_mov_b32_e32 v2, s53
	v_add_co_u32_e32 v8, vcc, s52, v0
	v_addc_co_u32_e32 v9, vcc, v2, v1, vcc
	global_load_dwordx4 v[0:3], v[8:9], off
	s_andn2_b64 vcc, exec, s[30:31]
	v_pk_mov_b32 v[10:11], v[6:7], v[6:7] op_sel:[0,1]
	s_mov_b64 s[80:81], s[74:75]
	s_mov_b64 s[82:83], s[72:73]
	s_mov_b32 s44, s91
	s_cbranch_vccnz .LBB66_31
.LBB66_33:                              ;   Parent Loop BB66_4 Depth=1
                                        ;     Parent Loop BB66_32 Depth=2
                                        ; =>    This Inner Loop Header: Depth=3
	global_load_dwordx2 v[16:17], v40, s[80:81]
	global_load_dwordx4 v[12:15], v[10:11], off offset:-8
	global_load_dwordx2 v[42:43], v40, s[82:83]
	s_add_i32 s44, s44, -1
	s_waitcnt vmcnt(3)
	v_pk_mov_b32 v[44:45], v[2:3], v[2:3] op_sel:[0,1]
	v_pk_mov_b32 v[46:47], v[0:1], v[0:1] op_sel:[0,1]
	s_add_u32 s82, s82, -8
	s_addc_u32 s83, s83, -1
	s_add_u32 s80, s80, -8
	s_addc_u32 s81, s81, -1
	s_cmp_lt_u32 s44, 3
	s_waitcnt vmcnt(2)
	v_mul_f64 v[48:49], v[46:47], v[16:17]
	v_mul_f64 v[50:51], v[44:45], v[16:17]
	s_waitcnt vmcnt(1)
	v_mul_f64 v[0:1], v[16:17], v[12:13]
	v_mul_f64 v[2:3], v[16:17], v[14:15]
	s_waitcnt vmcnt(0)
	v_fma_f64 v[12:13], v[42:43], v[12:13], -v[48:49]
	v_fma_f64 v[14:15], v[42:43], v[14:15], -v[50:51]
	global_store_dwordx4 v[10:11], v[12:15], off offset:-8
	v_add_co_u32_e32 v10, vcc, -16, v10
	v_fmac_f64_e32 v[0:1], v[46:47], v[42:43]
	v_fmac_f64_e32 v[2:3], v[44:45], v[42:43]
	v_addc_co_u32_e32 v11, vcc, -1, v11, vcc
	s_cbranch_scc0 .LBB66_33
	s_branch .LBB66_31
.LBB66_34:                              ;   in Loop: Header=BB66_4 Depth=1
	s_or_b64 exec, exec, s[76:77]
	s_mov_b64 s[76:77], 0
.LBB66_35:                              ;   in Loop: Header=BB66_4 Depth=1
	s_andn2_b64 vcc, exec, s[76:77]
	s_cbranch_vccnz .LBB66_3
; %bb.36:                               ;   in Loop: Header=BB66_4 Depth=1
	s_andn2_b64 vcc, exec, s[38:39]
	s_mov_b64 s[76:77], -1
	s_cbranch_vccnz .LBB66_43
; %bb.37:                               ;   in Loop: Header=BB66_4 Depth=1
	s_and_saveexec_b64 s[76:77], s[0:1]
	s_cbranch_execz .LBB66_42
; %bb.38:                               ;   in Loop: Header=BB66_4 Depth=1
	s_lshl_b64 s[44:45], s[26:27], 4
	v_mov_b32_e32 v0, s54
	v_add_co_u32_e32 v6, vcc, s55, v24
	s_add_u32 s48, s52, s44
	v_addc_co_u32_e32 v7, vcc, v25, v0, vcc
	s_addc_u32 s49, s53, s45
	s_mov_b64 s[78:79], 0
	v_mov_b32_e32 v5, v4
	s_branch .LBB66_40
.LBB66_39:                              ;   in Loop: Header=BB66_40 Depth=2
	v_add_u32_e32 v5, s4, v5
	v_cmp_le_i32_e32 vcc, s86, v5
	s_waitcnt vmcnt(0)
	global_store_dwordx4 v[8:9], v[0:3], off offset:-16
	s_or_b64 s[78:79], vcc, s[78:79]
	v_mov_b32_e32 v0, s61
	v_add_co_u32_e32 v6, vcc, s60, v6
	v_addc_co_u32_e32 v7, vcc, v7, v0, vcc
	s_andn2_b64 exec, exec, s[78:79]
	s_cbranch_execz .LBB66_42
.LBB66_40:                              ;   Parent Loop BB66_4 Depth=1
                                        ; =>  This Loop Header: Depth=2
                                        ;       Child Loop BB66_41 Depth 3
	v_mad_i64_i32 v[0:1], s[44:45], v5, s20, 0
	v_lshlrev_b64 v[0:1], 4, v[0:1]
	v_mov_b32_e32 v2, s49
	v_add_co_u32_e32 v8, vcc, s48, v0
	v_addc_co_u32_e32 v9, vcc, v2, v1, vcc
	global_load_dwordx4 v[0:3], v[8:9], off offset:-16
	s_andn2_b64 vcc, exec, s[30:31]
	v_pk_mov_b32 v[10:11], v[6:7], v[6:7] op_sel:[0,1]
	s_mov_b64 s[80:81], s[70:71]
	s_mov_b64 s[82:83], s[68:69]
	s_mov_b32 s44, s56
	s_cbranch_vccnz .LBB66_39
.LBB66_41:                              ;   Parent Loop BB66_4 Depth=1
                                        ;     Parent Loop BB66_40 Depth=2
                                        ; =>    This Inner Loop Header: Depth=3
	global_load_dwordx4 v[12:15], v[10:11], off offset:-8
	global_load_dwordx2 v[16:17], v40, s[82:83]
	global_load_dwordx2 v[46:47], v40, s[80:81]
	s_add_i32 s44, s44, -1
	s_add_u32 s82, s82, 8
	s_addc_u32 s83, s83, 0
	s_add_u32 s80, s80, 8
	s_addc_u32 s81, s81, 0
	s_cmp_eq_u32 s44, 0
	s_waitcnt vmcnt(1)
	v_mul_f64 v[42:43], v[16:17], v[12:13]
	v_mul_f64 v[44:45], v[16:17], v[14:15]
	s_waitcnt vmcnt(0)
	v_fmac_f64_e32 v[42:43], v[0:1], v[46:47]
	v_fmac_f64_e32 v[44:45], v[2:3], v[46:47]
	v_mul_f64 v[12:13], v[46:47], v[12:13]
	v_mul_f64 v[14:15], v[46:47], v[14:15]
	global_store_dwordx4 v[10:11], v[42:45], off offset:-8
	v_add_co_u32_e32 v10, vcc, 16, v10
	v_fma_f64 v[0:1], v[0:1], v[16:17], -v[12:13]
	v_fma_f64 v[2:3], v[2:3], v[16:17], -v[14:15]
	v_addc_co_u32_e32 v11, vcc, 0, v11, vcc
	s_cbranch_scc0 .LBB66_41
	s_branch .LBB66_39
.LBB66_42:                              ;   in Loop: Header=BB66_4 Depth=1
	s_or_b64 exec, exec, s[76:77]
	s_mov_b64 s[76:77], 0
.LBB66_43:                              ;   in Loop: Header=BB66_4 Depth=1
	s_andn2_b64 vcc, exec, s[76:77]
	s_cbranch_vccnz .LBB66_3
; %bb.44:                               ;   in Loop: Header=BB66_4 Depth=1
	s_andn2_b64 vcc, exec, s[40:41]
	s_mov_b64 s[76:77], -1
	s_cbranch_vccnz .LBB66_51
; %bb.45:                               ;   in Loop: Header=BB66_4 Depth=1
	s_and_saveexec_b64 s[76:77], s[0:1]
	s_cbranch_execz .LBB66_50
; %bb.46:                               ;   in Loop: Header=BB66_4 Depth=1
	s_lshl_b64 s[44:45], s[26:27], 4
	v_mov_b32_e32 v0, s54
	v_add_co_u32_e32 v6, vcc, s55, v28
	s_add_u32 s48, s52, s44
	v_addc_co_u32_e32 v7, vcc, v29, v0, vcc
	s_addc_u32 s49, s53, s45
	s_mov_b64 s[78:79], 0
	v_mov_b32_e32 v5, v4
	s_branch .LBB66_48
.LBB66_47:                              ;   in Loop: Header=BB66_48 Depth=2
	v_add_u32_e32 v5, s4, v5
	v_cmp_le_i32_e32 vcc, s86, v5
	s_waitcnt vmcnt(0)
	global_store_dwordx4 v[8:9], v[0:3], off offset:-16
	s_or_b64 s[78:79], vcc, s[78:79]
	v_mov_b32_e32 v0, s61
	v_add_co_u32_e32 v6, vcc, s60, v6
	v_addc_co_u32_e32 v7, vcc, v7, v0, vcc
	s_andn2_b64 exec, exec, s[78:79]
	s_cbranch_execz .LBB66_50
.LBB66_48:                              ;   Parent Loop BB66_4 Depth=1
                                        ; =>  This Loop Header: Depth=2
                                        ;       Child Loop BB66_49 Depth 3
	v_mad_i64_i32 v[0:1], s[44:45], v5, s20, 0
	v_lshlrev_b64 v[0:1], 4, v[0:1]
	v_mov_b32_e32 v2, s49
	v_add_co_u32_e32 v8, vcc, s48, v0
	v_addc_co_u32_e32 v9, vcc, v2, v1, vcc
	global_load_dwordx4 v[0:3], v[8:9], off offset:-16
	s_andn2_b64 vcc, exec, s[30:31]
	v_pk_mov_b32 v[10:11], v[6:7], v[6:7] op_sel:[0,1]
	s_mov_b64 s[80:81], s[74:75]
	s_mov_b64 s[82:83], s[72:73]
	s_mov_b32 s44, s56
	s_cbranch_vccnz .LBB66_47
.LBB66_49:                              ;   Parent Loop BB66_4 Depth=1
                                        ;     Parent Loop BB66_48 Depth=2
                                        ; =>    This Inner Loop Header: Depth=3
	global_load_dwordx4 v[12:15], v[10:11], off offset:-8
	global_load_dwordx2 v[16:17], v40, s[82:83]
	global_load_dwordx2 v[46:47], v40, s[80:81]
	s_add_i32 s44, s44, -1
	s_add_u32 s82, s82, -8
	s_addc_u32 s83, s83, -1
	s_add_u32 s80, s80, -8
	s_addc_u32 s81, s81, -1
	s_cmp_eq_u32 s44, 0
	s_waitcnt vmcnt(1)
	v_mul_f64 v[42:43], v[16:17], v[12:13]
	v_mul_f64 v[44:45], v[16:17], v[14:15]
	s_waitcnt vmcnt(0)
	v_fmac_f64_e32 v[42:43], v[0:1], v[46:47]
	v_fmac_f64_e32 v[44:45], v[2:3], v[46:47]
	v_mul_f64 v[12:13], v[46:47], v[12:13]
	v_mul_f64 v[14:15], v[46:47], v[14:15]
	global_store_dwordx4 v[10:11], v[42:45], off offset:-8
	v_add_co_u32_e32 v10, vcc, -16, v10
	v_fma_f64 v[0:1], v[0:1], v[16:17], -v[12:13]
	v_fma_f64 v[2:3], v[2:3], v[16:17], -v[14:15]
	v_addc_co_u32_e32 v11, vcc, -1, v11, vcc
	s_cbranch_scc0 .LBB66_49
	s_branch .LBB66_47
.LBB66_50:                              ;   in Loop: Header=BB66_4 Depth=1
	s_or_b64 exec, exec, s[76:77]
	s_mov_b64 s[76:77], 0
.LBB66_51:                              ;   in Loop: Header=BB66_4 Depth=1
	s_andn2_b64 vcc, exec, s[76:77]
	s_cbranch_vccnz .LBB66_3
; %bb.52:                               ;   in Loop: Header=BB66_4 Depth=1
	v_mov_b32_e32 v0, s54
	v_add_co_u32_e32 v6, vcc, s55, v30
	v_addc_co_u32_e32 v7, vcc, v31, v0, vcc
	s_andn2_b64 vcc, exec, s[42:43]
	s_mov_b64 s[72:73], -1
	s_cbranch_vccnz .LBB66_59
; %bb.53:                               ;   in Loop: Header=BB66_4 Depth=1
	s_and_saveexec_b64 s[72:73], s[2:3]
	s_cbranch_execz .LBB66_58
; %bb.54:                               ;   in Loop: Header=BB66_4 Depth=1
	s_lshl_b64 s[44:45], s[66:67], 4
	s_add_u32 s48, s52, s44
	s_addc_u32 s49, s53, s45
	s_mov_b64 s[74:75], 0
	v_pk_mov_b32 v[8:9], v[6:7], v[6:7] op_sel:[0,1]
	v_mov_b32_e32 v10, v4
	s_branch .LBB66_56
.LBB66_55:                              ;   in Loop: Header=BB66_56 Depth=2
	v_mov_b32_e32 v5, s49
	v_add_co_u32_e32 v12, vcc, s48, v12
	v_addc_co_u32_e32 v13, vcc, v5, v13, vcc
	v_add_u32_e32 v10, s4, v10
	v_cmp_le_i32_e32 vcc, s19, v10
	s_waitcnt vmcnt(0)
	global_store_dwordx4 v[12:13], v[0:3], off
	s_or_b64 s[74:75], vcc, s[74:75]
	v_mov_b32_e32 v0, s63
	v_add_co_u32_e32 v8, vcc, s62, v8
	v_addc_co_u32_e32 v9, vcc, v9, v0, vcc
	s_andn2_b64 exec, exec, s[74:75]
	s_cbranch_execz .LBB66_58
.LBB66_56:                              ;   Parent Loop BB66_4 Depth=1
                                        ; =>  This Loop Header: Depth=2
                                        ;       Child Loop BB66_57 Depth 3
	v_ashrrev_i32_e32 v11, 31, v10
	v_lshlrev_b64 v[12:13], 4, v[10:11]
	v_mov_b32_e32 v1, s53
	v_add_co_u32_e32 v0, vcc, s52, v12
	v_addc_co_u32_e32 v1, vcc, v1, v13, vcc
	global_load_dwordx4 v[0:3], v[0:1], off
	s_andn2_b64 vcc, exec, s[46:47]
	s_mov_b64 s[76:77], s[70:71]
	s_mov_b64 s[78:79], s[68:69]
	v_pk_mov_b32 v[14:15], v[8:9], v[8:9] op_sel:[0,1]
	s_mov_b32 s44, s18
	s_cbranch_vccnz .LBB66_55
.LBB66_57:                              ;   Parent Loop BB66_4 Depth=1
                                        ;     Parent Loop BB66_56 Depth=2
                                        ; =>    This Inner Loop Header: Depth=3
	v_mov_b32_e32 v5, s65
	v_add_co_u32_e32 v50, vcc, s64, v14
	global_load_dwordx2 v[16:17], v40, s[76:77]
	v_addc_co_u32_e32 v51, vcc, v15, v5, vcc
	global_load_dwordx4 v[42:45], v[50:51], off offset:-8
	global_load_dwordx2 v[52:53], v40, s[78:79]
	s_add_i32 s44, s44, -1
	s_add_u32 s78, s78, 8
	s_addc_u32 s79, s79, 0
	s_add_u32 s76, s76, 8
	s_addc_u32 s77, s77, 0
	s_cmp_eq_u32 s44, 0
	s_waitcnt vmcnt(2)
	v_mul_f64 v[54:55], v[0:1], v[16:17]
	v_mul_f64 v[56:57], v[2:3], v[16:17]
	s_waitcnt vmcnt(1)
	v_mul_f64 v[46:47], v[16:17], v[42:43]
	v_mul_f64 v[48:49], v[16:17], v[44:45]
	s_waitcnt vmcnt(0)
	v_fmac_f64_e32 v[46:47], v[0:1], v[52:53]
	v_fmac_f64_e32 v[48:49], v[2:3], v[52:53]
	v_fma_f64 v[0:1], v[52:53], v[42:43], -v[54:55]
	v_fma_f64 v[2:3], v[52:53], v[44:45], -v[56:57]
	global_store_dwordx4 v[14:15], v[46:49], off offset:-8
	v_pk_mov_b32 v[14:15], v[50:51], v[50:51] op_sel:[0,1]
	s_cbranch_scc0 .LBB66_57
	s_branch .LBB66_55
.LBB66_58:                              ;   in Loop: Header=BB66_4 Depth=1
	s_or_b64 exec, exec, s[72:73]
	s_mov_b64 s[72:73], 0
.LBB66_59:                              ;   in Loop: Header=BB66_4 Depth=1
	s_andn2_b64 vcc, exec, s[72:73]
	s_cbranch_vccnz .LBB66_3
; %bb.60:                               ;   in Loop: Header=BB66_4 Depth=1
	s_add_u32 s72, s5, s85
	s_addc_u32 s73, s21, s84
	v_mov_b32_e32 v0, s54
	v_add_co_u32_e32 v8, vcc, s55, v34
	v_readlane_b32 s44, v41, 0
	s_add_u32 s74, s57, s51
	v_addc_co_u32_e32 v9, vcc, v35, v0, vcc
	v_readlane_b32 s45, v41, 1
	s_addc_u32 s75, s92, s50
	s_andn2_b64 vcc, exec, s[44:45]
	s_mov_b64 s[76:77], -1
	s_cbranch_vccnz .LBB66_68
; %bb.61:                               ;   in Loop: Header=BB66_4 Depth=1
	s_and_saveexec_b64 s[76:77], s[2:3]
	s_cbranch_execz .LBB66_67
; %bb.62:                               ;   in Loop: Header=BB66_4 Depth=1
	s_lshl_b64 s[44:45], s[66:67], 4
	v_mov_b32_e32 v0, s54
	v_add_co_u32_e32 v10, vcc, s55, v32
	s_add_u32 s50, s52, s44
	v_addc_co_u32_e32 v5, vcc, v33, v0, vcc
	s_addc_u32 s51, s53, s45
	s_mov_b64 s[78:79], 0
	v_pk_mov_b32 v[12:13], v[8:9], v[8:9] op_sel:[0,1]
	v_mov_b32_e32 v14, v4
	s_branch .LBB66_64
.LBB66_63:                              ;   in Loop: Header=BB66_64 Depth=2
	v_mov_b32_e32 v11, s53
	v_add_co_u32_e32 v16, vcc, s52, v16
	v_addc_co_u32_e32 v17, vcc, v11, v17, vcc
	s_waitcnt vmcnt(0)
	global_store_dwordx4 v[16:17], v[0:3], off
	v_add_co_u32_e32 v10, vcc, s62, v10
	v_mov_b32_e32 v0, s63
	v_add_u32_e32 v14, s4, v14
	v_addc_co_u32_e32 v5, vcc, v5, v0, vcc
	v_cmp_le_i32_e32 vcc, s19, v14
	s_or_b64 s[78:79], vcc, s[78:79]
	v_add_co_u32_e32 v12, vcc, s62, v12
	v_addc_co_u32_e32 v13, vcc, v13, v0, vcc
	s_andn2_b64 exec, exec, s[78:79]
	s_cbranch_execz .LBB66_67
.LBB66_64:                              ;   Parent Loop BB66_4 Depth=1
                                        ; =>  This Loop Header: Depth=2
                                        ;       Child Loop BB66_66 Depth 3
	v_ashrrev_i32_e32 v15, 31, v14
	v_lshlrev_b64 v[16:17], 4, v[14:15]
	v_mov_b32_e32 v1, s51
	v_add_co_u32_e32 v0, vcc, s50, v16
	v_addc_co_u32_e32 v1, vcc, v1, v17, vcc
	global_load_dwordx4 v[0:3], v[0:1], off
	s_andn2_b64 vcc, exec, s[46:47]
	s_cbranch_vccnz .LBB66_63
; %bb.65:                               ;   in Loop: Header=BB66_64 Depth=2
	s_mov_b64 s[80:81], 0
	s_mov_b64 s[82:83], s[74:75]
	;; [unrolled: 1-line block ×3, first 2 shown]
	s_mov_b32 s48, s18
.LBB66_66:                              ;   Parent Loop BB66_4 Depth=1
                                        ;     Parent Loop BB66_64 Depth=2
                                        ; =>    This Inner Loop Header: Depth=3
	v_mov_b32_e32 v11, s81
	v_add_co_u32_e32 v42, vcc, s80, v10
	v_addc_co_u32_e32 v43, vcc, v5, v11, vcc
	global_load_dwordx2 v[46:47], v40, s[84:85]
	global_load_dwordx2 v[48:49], v40, s[82:83]
	s_add_i32 s48, s48, -1
	global_load_dwordx4 v[42:45], v[42:43], off
	v_add_co_u32_e32 v54, vcc, s80, v12
	s_sub_u32 s80, s80, s64
	s_subb_u32 s81, s81, s65
	s_add_u32 s84, s84, -8
	s_addc_u32 s85, s85, -1
	s_add_u32 s82, s82, -8
	s_waitcnt vmcnt(3)
	v_pk_mov_b32 v[50:51], v[2:3], v[2:3] op_sel:[0,1]
	v_pk_mov_b32 v[52:53], v[0:1], v[0:1] op_sel:[0,1]
	s_addc_u32 s83, s83, -1
	v_addc_co_u32_e32 v55, vcc, v13, v11, vcc
	s_cmp_eq_u32 s48, 0
	s_waitcnt vmcnt(0)
	v_mul_f64 v[56:57], v[48:49], v[42:43]
	v_mul_f64 v[58:59], v[48:49], v[44:45]
	;; [unrolled: 1-line block ×4, first 2 shown]
	v_fma_f64 v[42:43], v[52:53], v[46:47], -v[56:57]
	v_fma_f64 v[44:45], v[50:51], v[46:47], -v[58:59]
	v_fmac_f64_e32 v[0:1], v[52:53], v[48:49]
	v_fmac_f64_e32 v[2:3], v[50:51], v[48:49]
	global_store_dwordx4 v[54:55], v[42:45], off offset:-8
	s_cbranch_scc0 .LBB66_66
	s_branch .LBB66_63
.LBB66_67:                              ;   in Loop: Header=BB66_4 Depth=1
	s_or_b64 exec, exec, s[76:77]
	s_mov_b64 s[76:77], 0
.LBB66_68:                              ;   in Loop: Header=BB66_4 Depth=1
	s_andn2_b64 vcc, exec, s[76:77]
	s_cbranch_vccnz .LBB66_3
; %bb.69:                               ;   in Loop: Header=BB66_4 Depth=1
	v_readlane_b32 s44, v41, 2
	v_readlane_b32 s45, v41, 3
	s_andn2_b64 vcc, exec, s[44:45]
	s_mov_b64 s[76:77], -1
	s_cbranch_vccnz .LBB66_76
; %bb.70:                               ;   in Loop: Header=BB66_4 Depth=1
	s_and_saveexec_b64 s[76:77], s[2:3]
	s_cbranch_execz .LBB66_75
; %bb.71:                               ;   in Loop: Header=BB66_4 Depth=1
	v_mov_b32_e32 v0, s54
	v_add_co_u32_e32 v10, vcc, s55, v36
	v_addc_co_u32_e32 v11, vcc, v37, v0, vcc
	s_mov_b64 s[78:79], 0
	v_mov_b32_e32 v12, v4
	s_branch .LBB66_73
.LBB66_72:                              ;   in Loop: Header=BB66_73 Depth=2
	v_add_u32_e32 v12, s4, v12
	v_cmp_le_i32_e32 vcc, s19, v12
	s_waitcnt vmcnt(0)
	global_store_dwordx4 v[14:15], v[0:3], off
	s_or_b64 s[78:79], vcc, s[78:79]
	v_mov_b32_e32 v0, s63
	v_add_co_u32_e32 v10, vcc, s62, v10
	v_addc_co_u32_e32 v11, vcc, v11, v0, vcc
	s_andn2_b64 exec, exec, s[78:79]
	s_cbranch_execz .LBB66_75
.LBB66_73:                              ;   Parent Loop BB66_4 Depth=1
                                        ; =>  This Loop Header: Depth=2
                                        ;       Child Loop BB66_74 Depth 3
	v_ashrrev_i32_e32 v13, 31, v12
	v_lshlrev_b64 v[0:1], 4, v[12:13]
	v_mov_b32_e32 v2, s53
	v_add_co_u32_e32 v14, vcc, s52, v0
	v_addc_co_u32_e32 v15, vcc, v2, v1, vcc
	global_load_dwordx4 v[0:3], v[14:15], off
	s_andn2_b64 vcc, exec, s[46:47]
	v_pk_mov_b32 v[16:17], v[10:11], v[10:11] op_sel:[0,1]
	s_mov_b32 s48, s18
	s_mov_b64 s[80:81], s[68:69]
	s_mov_b64 s[82:83], s[70:71]
	s_cbranch_vccnz .LBB66_72
.LBB66_74:                              ;   Parent Loop BB66_4 Depth=1
                                        ;     Parent Loop BB66_73 Depth=2
                                        ; =>    This Inner Loop Header: Depth=3
	global_load_dwordx2 v[46:47], v40, s[82:83]
	global_load_dwordx4 v[42:45], v[16:17], off offset:-8
	global_load_dwordx2 v[48:49], v40, s[80:81]
	s_waitcnt vmcnt(3)
	v_pk_mov_b32 v[50:51], v[2:3], v[2:3] op_sel:[0,1]
	v_pk_mov_b32 v[52:53], v[0:1], v[0:1] op_sel:[0,1]
	s_add_u32 s82, s82, 8
	s_addc_u32 s83, s83, 0
	s_add_u32 s80, s80, 8
	v_mov_b32_e32 v5, s65
	s_addc_u32 s81, s81, 0
	s_add_i32 s48, s48, -1
	s_cmp_eq_u32 s48, 0
	s_waitcnt vmcnt(2)
	v_mul_f64 v[54:55], v[52:53], v[46:47]
	v_mul_f64 v[56:57], v[50:51], v[46:47]
	s_waitcnt vmcnt(1)
	v_mul_f64 v[0:1], v[46:47], v[42:43]
	v_mul_f64 v[2:3], v[46:47], v[44:45]
	s_waitcnt vmcnt(0)
	v_fma_f64 v[42:43], v[48:49], v[42:43], -v[54:55]
	v_fma_f64 v[44:45], v[48:49], v[44:45], -v[56:57]
	global_store_dwordx4 v[16:17], v[42:45], off offset:-8
	v_add_co_u32_e32 v16, vcc, s64, v16
	v_fmac_f64_e32 v[0:1], v[52:53], v[48:49]
	v_fmac_f64_e32 v[2:3], v[50:51], v[48:49]
	v_addc_co_u32_e32 v17, vcc, v17, v5, vcc
	s_cbranch_scc0 .LBB66_74
	s_branch .LBB66_72
.LBB66_75:                              ;   in Loop: Header=BB66_4 Depth=1
	s_or_b64 exec, exec, s[76:77]
	s_mov_b64 s[76:77], 0
.LBB66_76:                              ;   in Loop: Header=BB66_4 Depth=1
	s_andn2_b64 vcc, exec, s[76:77]
	s_cbranch_vccnz .LBB66_3
; %bb.77:                               ;   in Loop: Header=BB66_4 Depth=1
	v_readlane_b32 s44, v41, 4
	v_readlane_b32 s45, v41, 5
	s_andn2_b64 vcc, exec, s[44:45]
	s_mov_b64 s[76:77], -1
	s_cbranch_vccnz .LBB66_84
; %bb.78:                               ;   in Loop: Header=BB66_4 Depth=1
	s_and_saveexec_b64 s[76:77], s[2:3]
	s_cbranch_execz .LBB66_83
; %bb.79:                               ;   in Loop: Header=BB66_4 Depth=1
	s_mov_b64 s[78:79], 0
	v_mov_b32_e32 v10, v4
	s_branch .LBB66_81
.LBB66_80:                              ;   in Loop: Header=BB66_81 Depth=2
	v_add_u32_e32 v10, s4, v10
	v_cmp_le_i32_e32 vcc, s19, v10
	s_waitcnt vmcnt(0)
	global_store_dwordx4 v[12:13], v[0:3], off
	s_or_b64 s[78:79], vcc, s[78:79]
	v_mov_b32_e32 v0, s63
	v_add_co_u32_e32 v8, vcc, s62, v8
	v_addc_co_u32_e32 v9, vcc, v9, v0, vcc
	s_andn2_b64 exec, exec, s[78:79]
	s_cbranch_execz .LBB66_83
.LBB66_81:                              ;   Parent Loop BB66_4 Depth=1
                                        ; =>  This Loop Header: Depth=2
                                        ;       Child Loop BB66_82 Depth 3
	v_ashrrev_i32_e32 v11, 31, v10
	v_lshlrev_b64 v[0:1], 4, v[10:11]
	v_mov_b32_e32 v2, s53
	v_add_co_u32_e32 v12, vcc, s52, v0
	v_addc_co_u32_e32 v13, vcc, v2, v1, vcc
	global_load_dwordx4 v[0:3], v[12:13], off
	s_andn2_b64 vcc, exec, s[46:47]
	v_pk_mov_b32 v[14:15], v[8:9], v[8:9] op_sel:[0,1]
	s_mov_b64 s[80:81], s[74:75]
	s_mov_b64 s[82:83], s[72:73]
	s_mov_b32 s48, s93
	s_cbranch_vccnz .LBB66_80
.LBB66_82:                              ;   Parent Loop BB66_4 Depth=1
                                        ;     Parent Loop BB66_81 Depth=2
                                        ; =>    This Inner Loop Header: Depth=3
	global_load_dwordx2 v[16:17], v40, s[80:81]
	global_load_dwordx4 v[42:45], v[14:15], off offset:-8
	global_load_dwordx2 v[46:47], v40, s[82:83]
	s_add_i32 s48, s48, -1
	s_waitcnt vmcnt(3)
	v_pk_mov_b32 v[48:49], v[2:3], v[2:3] op_sel:[0,1]
	v_pk_mov_b32 v[50:51], v[0:1], v[0:1] op_sel:[0,1]
	s_add_u32 s82, s82, -8
	s_addc_u32 s83, s83, -1
	s_add_u32 s80, s80, -8
	v_mov_b32_e32 v5, s95
	s_addc_u32 s81, s81, -1
	s_cmp_lt_u32 s48, 3
	s_waitcnt vmcnt(2)
	v_mul_f64 v[52:53], v[50:51], v[16:17]
	v_mul_f64 v[54:55], v[48:49], v[16:17]
	s_waitcnt vmcnt(1)
	v_mul_f64 v[0:1], v[16:17], v[42:43]
	v_mul_f64 v[2:3], v[16:17], v[44:45]
	s_waitcnt vmcnt(0)
	v_fma_f64 v[42:43], v[46:47], v[42:43], -v[52:53]
	v_fma_f64 v[44:45], v[46:47], v[44:45], -v[54:55]
	global_store_dwordx4 v[14:15], v[42:45], off offset:-8
	v_add_co_u32_e32 v14, vcc, s94, v14
	v_fmac_f64_e32 v[0:1], v[50:51], v[46:47]
	v_fmac_f64_e32 v[2:3], v[48:49], v[46:47]
	v_addc_co_u32_e32 v15, vcc, v15, v5, vcc
	s_cbranch_scc0 .LBB66_82
	s_branch .LBB66_80
.LBB66_83:                              ;   in Loop: Header=BB66_4 Depth=1
	s_or_b64 exec, exec, s[76:77]
	s_mov_b64 s[76:77], 0
.LBB66_84:                              ;   in Loop: Header=BB66_4 Depth=1
	s_andn2_b64 vcc, exec, s[76:77]
	s_cbranch_vccnz .LBB66_3
; %bb.85:                               ;   in Loop: Header=BB66_4 Depth=1
	v_readlane_b32 s44, v41, 6
	v_readlane_b32 s45, v41, 7
	s_andn2_b64 vcc, exec, s[44:45]
	s_mov_b64 s[76:77], -1
	s_cbranch_vccnz .LBB66_92
; %bb.86:                               ;   in Loop: Header=BB66_4 Depth=1
	s_and_saveexec_b64 s[76:77], s[2:3]
	s_cbranch_execz .LBB66_91
; %bb.87:                               ;   in Loop: Header=BB66_4 Depth=1
	s_lshl_b64 s[44:45], s[66:67], 4
	s_add_u32 s48, s52, s44
	s_addc_u32 s49, s53, s45
	s_mov_b64 s[78:79], 0
	v_mov_b32_e32 v8, v4
	s_branch .LBB66_89
.LBB66_88:                              ;   in Loop: Header=BB66_89 Depth=2
	v_add_u32_e32 v8, s4, v8
	v_cmp_le_i32_e32 vcc, s19, v8
	s_waitcnt vmcnt(0)
	global_store_dwordx4 v[10:11], v[0:3], off
	s_or_b64 s[78:79], vcc, s[78:79]
	v_mov_b32_e32 v0, s63
	v_add_co_u32_e32 v6, vcc, s62, v6
	v_addc_co_u32_e32 v7, vcc, v7, v0, vcc
	s_andn2_b64 exec, exec, s[78:79]
	s_cbranch_execz .LBB66_91
.LBB66_89:                              ;   Parent Loop BB66_4 Depth=1
                                        ; =>  This Loop Header: Depth=2
                                        ;       Child Loop BB66_90 Depth 3
	v_ashrrev_i32_e32 v9, 31, v8
	v_lshlrev_b64 v[0:1], 4, v[8:9]
	v_mov_b32_e32 v2, s49
	v_add_co_u32_e32 v10, vcc, s48, v0
	v_addc_co_u32_e32 v11, vcc, v2, v1, vcc
	global_load_dwordx4 v[0:3], v[10:11], off
	s_andn2_b64 vcc, exec, s[46:47]
	v_pk_mov_b32 v[12:13], v[6:7], v[6:7] op_sel:[0,1]
	s_mov_b64 s[80:81], s[70:71]
	s_mov_b64 s[82:83], s[68:69]
	s_mov_b32 s50, s18
	s_cbranch_vccnz .LBB66_88
.LBB66_90:                              ;   Parent Loop BB66_4 Depth=1
                                        ;     Parent Loop BB66_89 Depth=2
                                        ; =>    This Inner Loop Header: Depth=3
	global_load_dwordx4 v[14:17], v[12:13], off offset:-8
	global_load_dwordx2 v[46:47], v40, s[82:83]
	global_load_dwordx2 v[48:49], v40, s[80:81]
	s_add_i32 s50, s50, -1
	s_add_u32 s82, s82, 8
	s_addc_u32 s83, s83, 0
	s_add_u32 s80, s80, 8
	v_mov_b32_e32 v5, s65
	s_addc_u32 s81, s81, 0
	s_cmp_eq_u32 s50, 0
	s_waitcnt vmcnt(1)
	v_mul_f64 v[42:43], v[46:47], v[14:15]
	v_mul_f64 v[44:45], v[46:47], v[16:17]
	s_waitcnt vmcnt(0)
	v_fmac_f64_e32 v[42:43], v[0:1], v[48:49]
	v_fmac_f64_e32 v[44:45], v[2:3], v[48:49]
	v_mul_f64 v[14:15], v[48:49], v[14:15]
	v_mul_f64 v[16:17], v[48:49], v[16:17]
	global_store_dwordx4 v[12:13], v[42:45], off offset:-8
	v_add_co_u32_e32 v12, vcc, s64, v12
	v_fma_f64 v[0:1], v[0:1], v[46:47], -v[14:15]
	v_fma_f64 v[2:3], v[2:3], v[46:47], -v[16:17]
	v_addc_co_u32_e32 v13, vcc, v13, v5, vcc
	s_cbranch_scc0 .LBB66_90
	s_branch .LBB66_88
.LBB66_91:                              ;   in Loop: Header=BB66_4 Depth=1
	s_or_b64 exec, exec, s[76:77]
	s_mov_b64 s[76:77], 0
.LBB66_92:                              ;   in Loop: Header=BB66_4 Depth=1
	s_andn2_b64 vcc, exec, s[76:77]
	s_cbranch_vccnz .LBB66_3
; %bb.93:                               ;   in Loop: Header=BB66_4 Depth=1
	s_mov_b64 s[68:69], exec
	v_readlane_b32 s44, v41, 8
	v_readlane_b32 s45, v41, 9
	s_and_b64 s[44:45], s[68:69], s[44:45]
	s_mov_b64 exec, s[44:45]
	s_cbranch_execz .LBB66_2
; %bb.94:                               ;   in Loop: Header=BB66_4 Depth=1
	s_lshl_b64 s[44:45], s[66:67], 4
	v_mov_b32_e32 v0, s54
	v_add_co_u32_e32 v6, vcc, s55, v38
	s_add_u32 s48, s52, s44
	v_addc_co_u32_e32 v7, vcc, v39, v0, vcc
	s_addc_u32 s49, s53, s45
	s_mov_b64 s[70:71], 0
	v_mov_b32_e32 v8, v4
	s_branch .LBB66_96
.LBB66_95:                              ;   in Loop: Header=BB66_96 Depth=2
	v_add_u32_e32 v8, s4, v8
	v_cmp_le_i32_e32 vcc, s19, v8
	s_waitcnt vmcnt(0)
	global_store_dwordx4 v[10:11], v[0:3], off
	s_or_b64 s[70:71], vcc, s[70:71]
	v_mov_b32_e32 v0, s63
	v_add_co_u32_e32 v6, vcc, s62, v6
	v_addc_co_u32_e32 v7, vcc, v7, v0, vcc
	s_andn2_b64 exec, exec, s[70:71]
	s_cbranch_execz .LBB66_2
.LBB66_96:                              ;   Parent Loop BB66_4 Depth=1
                                        ; =>  This Loop Header: Depth=2
                                        ;       Child Loop BB66_97 Depth 3
	v_ashrrev_i32_e32 v9, 31, v8
	v_lshlrev_b64 v[0:1], 4, v[8:9]
	v_mov_b32_e32 v2, s49
	v_add_co_u32_e32 v10, vcc, s48, v0
	v_addc_co_u32_e32 v11, vcc, v2, v1, vcc
	global_load_dwordx4 v[0:3], v[10:11], off
	s_andn2_b64 vcc, exec, s[46:47]
	v_pk_mov_b32 v[12:13], v[6:7], v[6:7] op_sel:[0,1]
	s_mov_b64 s[76:77], s[74:75]
	s_mov_b64 s[78:79], s[72:73]
	s_mov_b32 s50, s18
	s_cbranch_vccnz .LBB66_95
.LBB66_97:                              ;   Parent Loop BB66_4 Depth=1
                                        ;     Parent Loop BB66_96 Depth=2
                                        ; =>    This Inner Loop Header: Depth=3
	global_load_dwordx4 v[14:17], v[12:13], off offset:-8
	global_load_dwordx2 v[46:47], v40, s[78:79]
	global_load_dwordx2 v[48:49], v40, s[76:77]
	s_add_i32 s50, s50, -1
	s_add_u32 s78, s78, -8
	s_addc_u32 s79, s79, -1
	s_add_u32 s76, s76, -8
	v_mov_b32_e32 v5, s95
	s_addc_u32 s77, s77, -1
	s_cmp_eq_u32 s50, 0
	s_waitcnt vmcnt(1)
	v_mul_f64 v[42:43], v[46:47], v[14:15]
	v_mul_f64 v[44:45], v[46:47], v[16:17]
	s_waitcnt vmcnt(0)
	v_fmac_f64_e32 v[42:43], v[0:1], v[48:49]
	v_fmac_f64_e32 v[44:45], v[2:3], v[48:49]
	v_mul_f64 v[14:15], v[48:49], v[14:15]
	v_mul_f64 v[16:17], v[48:49], v[16:17]
	global_store_dwordx4 v[12:13], v[42:45], off offset:-8
	v_add_co_u32_e32 v12, vcc, s94, v12
	v_fma_f64 v[0:1], v[0:1], v[46:47], -v[14:15]
	v_fma_f64 v[2:3], v[2:3], v[46:47], -v[16:17]
	v_addc_co_u32_e32 v13, vcc, v13, v5, vcc
	s_cbranch_scc0 .LBB66_97
	s_branch .LBB66_95
.LBB66_98:
	s_endpgm
	.section	.rodata,"a",@progbits
	.p2align	6, 0x0
	.amdhsa_kernel _ZN9rocsolver6v33100L11lasr_kernelI19rocblas_complex_numIdEdPS3_iEEv13rocblas_side_14rocblas_pivot_15rocblas_direct_T2_S8_PT0_lSA_lT1_lS8_lS8_
		.amdhsa_group_segment_fixed_size 0
		.amdhsa_private_segment_fixed_size 0
		.amdhsa_kernarg_size 352
		.amdhsa_user_sgpr_count 6
		.amdhsa_user_sgpr_private_segment_buffer 1
		.amdhsa_user_sgpr_dispatch_ptr 0
		.amdhsa_user_sgpr_queue_ptr 0
		.amdhsa_user_sgpr_kernarg_segment_ptr 1
		.amdhsa_user_sgpr_dispatch_id 0
		.amdhsa_user_sgpr_flat_scratch_init 0
		.amdhsa_user_sgpr_kernarg_preload_length 0
		.amdhsa_user_sgpr_kernarg_preload_offset 0
		.amdhsa_user_sgpr_private_segment_size 0
		.amdhsa_uses_dynamic_stack 0
		.amdhsa_system_sgpr_private_segment_wavefront_offset 0
		.amdhsa_system_sgpr_workgroup_id_x 1
		.amdhsa_system_sgpr_workgroup_id_y 0
		.amdhsa_system_sgpr_workgroup_id_z 1
		.amdhsa_system_sgpr_workgroup_info 0
		.amdhsa_system_vgpr_workitem_id 0
		.amdhsa_next_free_vgpr 60
		.amdhsa_next_free_sgpr 96
		.amdhsa_accum_offset 60
		.amdhsa_reserve_vcc 1
		.amdhsa_reserve_flat_scratch 0
		.amdhsa_float_round_mode_32 0
		.amdhsa_float_round_mode_16_64 0
		.amdhsa_float_denorm_mode_32 3
		.amdhsa_float_denorm_mode_16_64 3
		.amdhsa_dx10_clamp 1
		.amdhsa_ieee_mode 1
		.amdhsa_fp16_overflow 0
		.amdhsa_tg_split 0
		.amdhsa_exception_fp_ieee_invalid_op 0
		.amdhsa_exception_fp_denorm_src 0
		.amdhsa_exception_fp_ieee_div_zero 0
		.amdhsa_exception_fp_ieee_overflow 0
		.amdhsa_exception_fp_ieee_underflow 0
		.amdhsa_exception_fp_ieee_inexact 0
		.amdhsa_exception_int_div_zero 0
	.end_amdhsa_kernel
	.section	.text._ZN9rocsolver6v33100L11lasr_kernelI19rocblas_complex_numIdEdPS3_iEEv13rocblas_side_14rocblas_pivot_15rocblas_direct_T2_S8_PT0_lSA_lT1_lS8_lS8_,"axG",@progbits,_ZN9rocsolver6v33100L11lasr_kernelI19rocblas_complex_numIdEdPS3_iEEv13rocblas_side_14rocblas_pivot_15rocblas_direct_T2_S8_PT0_lSA_lT1_lS8_lS8_,comdat
.Lfunc_end66:
	.size	_ZN9rocsolver6v33100L11lasr_kernelI19rocblas_complex_numIdEdPS3_iEEv13rocblas_side_14rocblas_pivot_15rocblas_direct_T2_S8_PT0_lSA_lT1_lS8_lS8_, .Lfunc_end66-_ZN9rocsolver6v33100L11lasr_kernelI19rocblas_complex_numIdEdPS3_iEEv13rocblas_side_14rocblas_pivot_15rocblas_direct_T2_S8_PT0_lSA_lT1_lS8_lS8_
                                        ; -- End function
	.section	.AMDGPU.csdata,"",@progbits
; Kernel info:
; codeLenInByte = 5004
; NumSgprs: 100
; NumVgprs: 60
; NumAgprs: 0
; TotalNumVgprs: 60
; ScratchSize: 0
; MemoryBound: 0
; FloatMode: 240
; IeeeMode: 1
; LDSByteSize: 0 bytes/workgroup (compile time only)
; SGPRBlocks: 12
; VGPRBlocks: 7
; NumSGPRsForWavesPerEU: 100
; NumVGPRsForWavesPerEU: 60
; AccumOffset: 60
; Occupancy: 8
; WaveLimiterHint : 0
; COMPUTE_PGM_RSRC2:SCRATCH_EN: 0
; COMPUTE_PGM_RSRC2:USER_SGPR: 6
; COMPUTE_PGM_RSRC2:TRAP_HANDLER: 0
; COMPUTE_PGM_RSRC2:TGID_X_EN: 1
; COMPUTE_PGM_RSRC2:TGID_Y_EN: 0
; COMPUTE_PGM_RSRC2:TGID_Z_EN: 1
; COMPUTE_PGM_RSRC2:TIDIG_COMP_CNT: 0
; COMPUTE_PGM_RSRC3_GFX90A:ACCUM_OFFSET: 14
; COMPUTE_PGM_RSRC3_GFX90A:TG_SPLIT: 0
	.section	.text._ZN9rocsolver6v33100L11swap_kernelI19rocblas_complex_numIdEiEEvT0_PT_S4_S6_S4_,"axG",@progbits,_ZN9rocsolver6v33100L11swap_kernelI19rocblas_complex_numIdEiEEvT0_PT_S4_S6_S4_,comdat
	.globl	_ZN9rocsolver6v33100L11swap_kernelI19rocblas_complex_numIdEiEEvT0_PT_S4_S6_S4_ ; -- Begin function _ZN9rocsolver6v33100L11swap_kernelI19rocblas_complex_numIdEiEEvT0_PT_S4_S6_S4_
	.p2align	8
	.type	_ZN9rocsolver6v33100L11swap_kernelI19rocblas_complex_numIdEiEEvT0_PT_S4_S6_S4_,@function
_ZN9rocsolver6v33100L11swap_kernelI19rocblas_complex_numIdEiEEvT0_PT_S4_S6_S4_: ; @_ZN9rocsolver6v33100L11swap_kernelI19rocblas_complex_numIdEiEEvT0_PT_S4_S6_S4_
; %bb.0:
	s_load_dword s16, s[6:7], 0x0
	s_waitcnt lgkmcnt(0)
	s_cmp_lt_i32 s16, 1
	s_cbranch_scc1 .LBB67_10
; %bb.1:
	s_load_dwordx2 s[0:1], s[4:5], 0x4
	s_load_dwordx2 s[2:3], s[6:7], 0x8
	s_load_dword s12, s[6:7], 0x10
	s_load_dwordx2 s[10:11], s[6:7], 0x18
	s_load_dword s9, s[6:7], 0x20
	s_waitcnt lgkmcnt(0)
	s_lshr_b32 s0, s0, 16
	s_mul_i32 s0, s0, s1
	v_and_b32_e32 v2, 0x3ff, v0
	v_mul_lo_u32 v1, s0, v2
	s_load_dword s0, s[6:7], 0x28
	s_load_dword s4, s[6:7], 0x34
	v_bfe_u32 v3, v0, 10, 10
	v_mul_u32_u24_e32 v3, s1, v3
	v_bfe_u32 v0, v0, 20, 10
	v_add3_u32 v1, v1, v3, v0
	s_waitcnt lgkmcnt(0)
	s_and_b32 s1, s4, 0xffff
	s_cmp_eq_u32 s12, 1
	s_mul_i32 s8, s8, s1
	s_mul_i32 s4, s0, s1
	s_cselect_b64 s[0:1], -1, 0
	s_cmp_eq_u32 s9, 1
	s_cselect_b64 s[6:7], -1, 0
	v_add_u32_e32 v0, s8, v2
	s_and_b64 s[14:15], s[0:1], s[6:7]
	v_cmp_gt_i32_e64 s[0:1], s16, v0
	s_mov_b64 s[6:7], -1
	s_and_b64 vcc, exec, s[14:15]
	s_cbranch_vccnz .LBB67_6
; %bb.2:
	s_and_saveexec_b64 s[6:7], s[0:1]
	s_cbranch_execz .LBB67_5
; %bb.3:
	v_mad_i64_i32 v[2:3], s[14:15], s9, v0, 0
	v_lshlrev_b64 v[2:3], 4, v[2:3]
	v_mov_b32_e32 v4, s11
	v_add_co_u32_e32 v2, vcc, s10, v2
	s_mul_hi_i32 s15, s9, s4
	s_mul_i32 s14, s9, s4
	v_addc_co_u32_e32 v3, vcc, v4, v3, vcc
	s_lshl_b64 s[8:9], s[14:15], 4
	v_mad_i64_i32 v[4:5], s[14:15], s12, v0, 0
	v_lshlrev_b64 v[4:5], 4, v[4:5]
	s_mul_hi_i32 s13, s12, s4
	s_mul_i32 s12, s12, s4
	v_mov_b32_e32 v7, s3
	v_add_co_u32_e32 v4, vcc, s2, v4
	s_lshl_b64 s[12:13], s[12:13], 4
	v_lshlrev_b32_e32 v6, 4, v1
	v_addc_co_u32_e32 v5, vcc, v7, v5, vcc
	s_mov_b64 s[14:15], 0
	v_mov_b32_e32 v7, s9
	v_mov_b32_e32 v8, s13
	;; [unrolled: 1-line block ×3, first 2 shown]
.LBB67_4:                               ; =>This Inner Loop Header: Depth=1
	global_load_dwordx4 v[10:13], v[2:3], off
	global_load_dwordx4 v[14:17], v[4:5], off
	v_add_u32_e32 v9, s4, v9
	v_cmp_le_i32_e32 vcc, s16, v9
	s_or_b64 s[14:15], vcc, s[14:15]
	s_waitcnt vmcnt(1)
	ds_write2_b64 v6, v[10:11], v[12:13] offset1:1
	s_waitcnt vmcnt(0)
	global_store_dwordx4 v[2:3], v[14:17], off
	global_store_dwordx4 v[4:5], v[10:13], off
	v_add_co_u32_e32 v2, vcc, s8, v2
	v_addc_co_u32_e32 v3, vcc, v3, v7, vcc
	v_add_co_u32_e32 v4, vcc, s12, v4
	v_addc_co_u32_e32 v5, vcc, v5, v8, vcc
	s_andn2_b64 exec, exec, s[14:15]
	s_cbranch_execnz .LBB67_4
.LBB67_5:
	s_or_b64 exec, exec, s[6:7]
	s_mov_b64 s[6:7], 0
.LBB67_6:
	s_andn2_b64 vcc, exec, s[6:7]
	s_cbranch_vccnz .LBB67_10
; %bb.7:
	s_and_saveexec_b64 s[6:7], s[0:1]
	s_cbranch_execz .LBB67_10
; %bb.8:
	v_mov_b32_e32 v2, 0x4000
	s_ashr_i32 s5, s4, 31
	v_lshl_add_u32 v4, v1, 4, v2
	v_ashrrev_i32_e32 v1, 31, v0
	s_lshl_b64 s[0:1], s[4:5], 4
	v_lshlrev_b64 v[2:3], 4, v[0:1]
	s_mov_b64 s[6:7], 0
	v_mov_b32_e32 v1, s11
	v_mov_b32_e32 v5, s3
	;; [unrolled: 1-line block ×3, first 2 shown]
.LBB67_9:                               ; =>This Inner Loop Header: Depth=1
	v_add_co_u32_e32 v16, vcc, s10, v2
	v_addc_co_u32_e32 v17, vcc, v1, v3, vcc
	v_add_co_u32_e32 v18, vcc, s2, v2
	v_addc_co_u32_e32 v19, vcc, v5, v3, vcc
	global_load_dwordx4 v[8:11], v[16:17], off
	global_load_dwordx4 v[12:15], v[18:19], off
	v_add_co_u32_e32 v2, vcc, s0, v2
	v_add_u32_e32 v0, s4, v0
	v_addc_co_u32_e32 v3, vcc, v3, v6, vcc
	v_cmp_le_i32_e32 vcc, s16, v0
	s_or_b64 s[6:7], vcc, s[6:7]
	s_waitcnt vmcnt(1)
	ds_write2_b64 v4, v[8:9], v[10:11] offset1:1
	s_waitcnt vmcnt(0)
	global_store_dwordx4 v[16:17], v[12:15], off
	global_store_dwordx4 v[18:19], v[8:11], off
	s_andn2_b64 exec, exec, s[6:7]
	s_cbranch_execnz .LBB67_9
.LBB67_10:
	s_endpgm
	.section	.rodata,"a",@progbits
	.p2align	6, 0x0
	.amdhsa_kernel _ZN9rocsolver6v33100L11swap_kernelI19rocblas_complex_numIdEiEEvT0_PT_S4_S6_S4_
		.amdhsa_group_segment_fixed_size 32768
		.amdhsa_private_segment_fixed_size 0
		.amdhsa_kernarg_size 296
		.amdhsa_user_sgpr_count 8
		.amdhsa_user_sgpr_private_segment_buffer 1
		.amdhsa_user_sgpr_dispatch_ptr 1
		.amdhsa_user_sgpr_queue_ptr 0
		.amdhsa_user_sgpr_kernarg_segment_ptr 1
		.amdhsa_user_sgpr_dispatch_id 0
		.amdhsa_user_sgpr_flat_scratch_init 0
		.amdhsa_user_sgpr_kernarg_preload_length 0
		.amdhsa_user_sgpr_kernarg_preload_offset 0
		.amdhsa_user_sgpr_private_segment_size 0
		.amdhsa_uses_dynamic_stack 0
		.amdhsa_system_sgpr_private_segment_wavefront_offset 0
		.amdhsa_system_sgpr_workgroup_id_x 1
		.amdhsa_system_sgpr_workgroup_id_y 0
		.amdhsa_system_sgpr_workgroup_id_z 0
		.amdhsa_system_sgpr_workgroup_info 0
		.amdhsa_system_vgpr_workitem_id 2
		.amdhsa_next_free_vgpr 20
		.amdhsa_next_free_sgpr 17
		.amdhsa_accum_offset 20
		.amdhsa_reserve_vcc 1
		.amdhsa_reserve_flat_scratch 0
		.amdhsa_float_round_mode_32 0
		.amdhsa_float_round_mode_16_64 0
		.amdhsa_float_denorm_mode_32 3
		.amdhsa_float_denorm_mode_16_64 3
		.amdhsa_dx10_clamp 1
		.amdhsa_ieee_mode 1
		.amdhsa_fp16_overflow 0
		.amdhsa_tg_split 0
		.amdhsa_exception_fp_ieee_invalid_op 0
		.amdhsa_exception_fp_denorm_src 0
		.amdhsa_exception_fp_ieee_div_zero 0
		.amdhsa_exception_fp_ieee_overflow 0
		.amdhsa_exception_fp_ieee_underflow 0
		.amdhsa_exception_fp_ieee_inexact 0
		.amdhsa_exception_int_div_zero 0
	.end_amdhsa_kernel
	.section	.text._ZN9rocsolver6v33100L11swap_kernelI19rocblas_complex_numIdEiEEvT0_PT_S4_S6_S4_,"axG",@progbits,_ZN9rocsolver6v33100L11swap_kernelI19rocblas_complex_numIdEiEEvT0_PT_S4_S6_S4_,comdat
.Lfunc_end67:
	.size	_ZN9rocsolver6v33100L11swap_kernelI19rocblas_complex_numIdEiEEvT0_PT_S4_S6_S4_, .Lfunc_end67-_ZN9rocsolver6v33100L11swap_kernelI19rocblas_complex_numIdEiEEvT0_PT_S4_S6_S4_
                                        ; -- End function
	.section	.AMDGPU.csdata,"",@progbits
; Kernel info:
; codeLenInByte = 560
; NumSgprs: 21
; NumVgprs: 20
; NumAgprs: 0
; TotalNumVgprs: 20
; ScratchSize: 0
; MemoryBound: 0
; FloatMode: 240
; IeeeMode: 1
; LDSByteSize: 32768 bytes/workgroup (compile time only)
; SGPRBlocks: 2
; VGPRBlocks: 2
; NumSGPRsForWavesPerEU: 21
; NumVGPRsForWavesPerEU: 20
; AccumOffset: 20
; Occupancy: 8
; WaveLimiterHint : 0
; COMPUTE_PGM_RSRC2:SCRATCH_EN: 0
; COMPUTE_PGM_RSRC2:USER_SGPR: 8
; COMPUTE_PGM_RSRC2:TRAP_HANDLER: 0
; COMPUTE_PGM_RSRC2:TGID_X_EN: 1
; COMPUTE_PGM_RSRC2:TGID_Y_EN: 0
; COMPUTE_PGM_RSRC2:TGID_Z_EN: 0
; COMPUTE_PGM_RSRC2:TIDIG_COMP_CNT: 2
; COMPUTE_PGM_RSRC3_GFX90A:ACCUM_OFFSET: 4
; COMPUTE_PGM_RSRC3_GFX90A:TG_SPLIT: 0
	.section	.text._ZN9rocsolver6v33100L12steqr_kernelI19rocblas_complex_numIdEdPS3_EEviPT0_lS6_lT1_iilPiS6_iS5_S5_S5_,"axG",@progbits,_ZN9rocsolver6v33100L12steqr_kernelI19rocblas_complex_numIdEdPS3_EEviPT0_lS6_lT1_iilPiS6_iS5_S5_S5_,comdat
	.globl	_ZN9rocsolver6v33100L12steqr_kernelI19rocblas_complex_numIdEdPS3_EEviPT0_lS6_lT1_iilPiS6_iS5_S5_S5_ ; -- Begin function _ZN9rocsolver6v33100L12steqr_kernelI19rocblas_complex_numIdEdPS3_EEviPT0_lS6_lT1_iilPiS6_iS5_S5_S5_
	.p2align	8
	.type	_ZN9rocsolver6v33100L12steqr_kernelI19rocblas_complex_numIdEdPS3_EEviPT0_lS6_lT1_iilPiS6_iS5_S5_S5_,@function
_ZN9rocsolver6v33100L12steqr_kernelI19rocblas_complex_numIdEdPS3_EEviPT0_lS6_lT1_iilPiS6_iS5_S5_S5_: ; @_ZN9rocsolver6v33100L12steqr_kernelI19rocblas_complex_numIdEdPS3_EEviPT0_lS6_lT1_iilPiS6_iS5_S5_S5_
; %bb.0:
                                        ; implicit-def: $vgpr70 : SGPR spill to VGPR lane
	v_and_b32_e32 v1, 0x3ff, v0
	v_writelane_b32 v70, s4, 0
	v_writelane_b32 v70, s5, 1
	s_load_dword s0, s[6:7], 0x7c
	s_load_dword s4, s[6:7], 0x70
	s_mov_b32 s38, s9
	s_waitcnt lgkmcnt(0)
	s_and_b32 s5, s0, 0xffff
	s_mul_i32 s8, s8, s5
	v_add_u32_e32 v6, s8, v1
	v_cmp_eq_u32_e64 s[0:1], 0, v6
	s_and_saveexec_b64 s[2:3], s[0:1]
	s_cbranch_execz .LBB68_2
; %bb.1:
	v_mov_b32_e32 v2, 0
	ds_write2_b32 v2, v2, v2 offset0:6 offset1:9
.LBB68_2:
	s_or_b64 exec, exec, s[2:3]
	s_load_dword s10, s[6:7], 0x0
	s_load_dwordx8 s[20:27], s[6:7], 0x8
	s_load_dwordx8 s[12:19], s[6:7], 0x28
	s_load_dwordx2 s[56:57], s[6:7], 0x48
	s_load_dword s33, s[6:7], 0x50
	s_ashr_i32 s39, s38, 31
	s_waitcnt lgkmcnt(0)
	s_mul_i32 s2, s38, s23
	s_mul_hi_u32 s3, s38, s22
	s_add_i32 s2, s3, s2
	s_mul_i32 s3, s39, s22
	s_add_i32 s3, s2, s3
	s_mul_i32 s2, s38, s22
	s_lshl_b64 s[34:35], s[2:3], 3
	s_add_u32 s22, s20, s34
	s_mul_i32 s2, s38, s27
	s_mul_hi_u32 s3, s38, s26
	s_addc_u32 s23, s21, s35
	s_add_i32 s2, s3, s2
	s_mul_i32 s3, s39, s26
	s_add_i32 s3, s2, s3
	s_mul_i32 s2, s38, s26
	v_writelane_b32 v70, s2, 2
	v_writelane_b32 v70, s3, 3
	s_ashr_i32 s3, s14, 31
	s_mov_b32 s2, s14
	v_mov_b32_e32 v8, 0
	v_writelane_b32 v70, s2, 4
	s_barrier
	ds_read2_b32 v[2:3], v8 offset0:6 offset1:9
	v_writelane_b32 v70, s3, 5
	s_mul_i32 s2, s38, s17
	s_mul_hi_u32 s3, s38, s16
	s_add_i32 s2, s3, s2
	s_mul_i32 s3, s39, s16
	s_add_i32 s3, s2, s3
	s_mul_i32 s2, s38, s16
	v_writelane_b32 v70, s2, 6
	v_writelane_b32 v70, s3, 7
	s_waitcnt lgkmcnt(0)
	v_cmp_gt_i32_e32 vcc, s10, v2
	v_cmp_gt_i32_e64 s[2:3], s33, v3
	s_and_b64 s[2:3], vcc, s[2:3]
	s_mul_i32 s36, s4, s5
	v_readfirstlane_b32 s8, v2
	s_andn2_b64 vcc, exec, s[2:3]
	s_add_i32 s40, s10, -1
	s_cbranch_vccnz .LBB68_224
; %bb.3:
	v_readlane_b32 s2, v70, 2
	v_readlane_b32 s3, v70, 3
	s_load_dwordx4 s[28:31], s[6:7], 0x58
	s_load_dwordx2 s[44:45], s[6:7], 0x68
	s_lshl_b32 s6, s10, 1
	s_lshl_b64 s[2:3], s[2:3], 3
	s_add_u32 s14, s24, s2
	s_addc_u32 s92, s25, s3
	v_readlane_b32 s2, v70, 6
	v_readlane_b32 s4, v70, 4
	;; [unrolled: 1-line block ×4, first 2 shown]
	s_lshl_b64 s[2:3], s[2:3], 4
	s_lshl_b64 s[4:5], s[4:5], 4
	s_add_u32 s2, s2, s4
	s_addc_u32 s3, s3, s5
	s_add_u32 s93, s12, s2
	s_addc_u32 s94, s13, s3
	s_mul_hi_i32 s3, s6, s38
	s_mul_i32 s2, s6, s38
	s_lshl_b64 s[6:7], s[2:3], 3
	s_add_u32 s95, s56, s6
	s_addc_u32 s66, s57, s7
	s_ashr_i32 s11, s10, 31
	s_ashr_i32 s47, s15, 31
	s_add_u32 s48, s14, -8
	s_addc_u32 s49, s92, -1
	s_add_u32 s50, s95, -8
	s_addc_u32 s51, s66, -1
	s_add_u32 s67, s20, s34
	s_addc_u32 s4, s21, s35
	s_add_u32 s5, s67, 8
	s_addc_u32 s26, s4, 0
	s_ashr_i32 s37, s36, 31
	s_lshl_b64 s[52:53], s[36:37], 3
	s_lshl_b64 s[54:55], s[10:11], 3
	s_add_u32 s6, s6, s54
	s_addc_u32 s7, s7, s55
	s_add_u32 s6, s6, s56
	s_addc_u32 s7, s7, s57
	s_add_u32 s6, s6, -16
	s_addc_u32 s7, s7, -1
	s_mov_b32 s46, s15
	s_add_u32 s11, s54, -8
	v_ashrrev_i32_e32 v7, 31, v6
	s_addc_u32 s27, s55, -1
	v_lshlrev_b64 v[2:3], 4, v[6:7]
	s_lshl_b64 s[58:59], s[46:47], 4
	s_lshl_b64 s[60:61], s[36:37], 4
	v_mov_b32_e32 v4, s94
	v_add_co_u32_e32 v2, vcc, s93, v2
	s_sub_u32 s37, 0, s58
	v_addc_co_u32_e32 v3, vcc, v4, v3, vcc
	s_subb_u32 s56, 0, s59
	v_add_co_u32_e32 v7, vcc, 8, v2
	s_add_u32 s57, s67, -8
	s_mov_b32 s64, 0
	s_mov_b32 s86, 0x667f3bcd
	s_waitcnt lgkmcnt(0)
	v_mul_f64 v[10:11], s[28:29], s[28:29]
	v_cmp_gt_i32_e64 s[2:3], s10, v6
	v_writelane_b32 v70, s6, 8
	v_addc_co_u32_e32 v58, vcc, 0, v3, vcc
	s_addc_u32 s16, s4, -1
	s_mov_b32 s63, 0
	s_brev_b32 s65, 8
	v_mov_b32_e32 v59, 0x260
	s_mov_b32 s87, 0x3ff6a09e
	v_mov_b32_e32 v60, 0xffffff80
	v_writelane_b32 v70, s7, 9
                                        ; implicit-def: $vgpr16_vgpr17
                                        ; implicit-def: $vgpr18_vgpr19
                                        ; implicit-def: $vgpr20_vgpr21
                                        ; implicit-def: $vgpr12_vgpr13
                                        ; implicit-def: $vgpr61
                                        ; implicit-def: $vgpr14_vgpr15
                                        ; implicit-def: $vgpr62
                                        ; implicit-def: $vgpr22_vgpr23
                                        ; implicit-def: $vgpr24_vgpr25
	s_branch .LBB68_7
.LBB68_4:                               ;   in Loop: Header=BB68_7 Depth=1
	s_or_b64 exec, exec, s[6:7]
.LBB68_5:                               ;   in Loop: Header=BB68_7 Depth=1
	s_barrier
.LBB68_6:                               ;   in Loop: Header=BB68_7 Depth=1
	ds_read2_b32 v[2:3], v8 offset0:6 offset1:9
	v_mov_b32_e32 v62, v63
	v_pk_mov_b32 v[22:23], v[30:31], v[30:31] op_sel:[0,1]
	v_pk_mov_b32 v[24:25], v[32:33], v[32:33] op_sel:[0,1]
	s_waitcnt lgkmcnt(0)
	v_cmp_gt_i32_e32 vcc, s10, v2
	v_cmp_gt_i32_e64 s[6:7], s33, v3
	s_and_b64 s[6:7], vcc, s[6:7]
	v_readfirstlane_b32 s8, v2
	s_andn2_b64 vcc, exec, s[6:7]
	s_cbranch_vccnz .LBB68_224
.LBB68_7:                               ; =>This Loop Header: Depth=1
                                        ;     Child Loop BB68_15 Depth 2
                                        ;     Child Loop BB68_28 Depth 2
	;; [unrolled: 1-line block ×5, first 2 shown]
                                        ;       Child Loop BB68_61 Depth 3
                                        ;       Child Loop BB68_80 Depth 3
	;; [unrolled: 1-line block ×3, first 2 shown]
                                        ;         Child Loop BB68_127 Depth 4
                                        ;     Child Loop BB68_148 Depth 2
                                        ;       Child Loop BB68_156 Depth 3
                                        ;       Child Loop BB68_175 Depth 3
	;; [unrolled: 1-line block ×3, first 2 shown]
                                        ;         Child Loop BB68_222 Depth 4
                                        ;     Child Loop BB68_138 Depth 2
                                        ;     Child Loop BB68_145 Depth 2
	s_and_saveexec_b64 s[6:7], s[0:1]
	s_cbranch_execz .LBB68_31
; %bb.8:                                ;   in Loop: Header=BB68_7 Depth=1
	s_cmp_lt_i32 s8, 1
	s_cbranch_scc1 .LBB68_10
; %bb.9:                                ;   in Loop: Header=BB68_7 Depth=1
	s_mov_b32 s9, s63
	s_lshl_b64 s[68:69], s[8:9], 3
	s_add_u32 s68, s48, s68
	s_addc_u32 s69, s49, s69
	v_mov_b32_e32 v9, v8
	global_store_dwordx2 v8, v[8:9], s[68:69]
.LBB68_10:                              ;   in Loop: Header=BB68_7 Depth=1
	s_mov_b64 s[70:71], -1
	s_mov_b64 s[74:75], 0
	s_cmp_lt_i32 s8, s40
	s_mov_b64 s[68:69], 0
	s_cbranch_scc1 .LBB68_12
; %bb.11:                               ;   in Loop: Header=BB68_7 Depth=1
	s_ashr_i32 s9, s8, 31
	s_mov_b64 s[70:71], 0
	s_mov_b64 s[68:69], -1
.LBB68_12:                              ;   in Loop: Header=BB68_7 Depth=1
	s_andn2_b64 vcc, exec, s[70:71]
	s_cbranch_vccnz .LBB68_17
; %bb.13:                               ;   in Loop: Header=BB68_7 Depth=1
	s_ashr_i32 s9, s8, 31
	s_lshl_b64 s[70:71], s[8:9], 3
	s_add_u32 s76, s14, s70
	s_addc_u32 s77, s92, s71
	s_add_u32 s74, s5, s70
	s_addc_u32 s75, s26, s71
	s_mov_b64 s[78:79], s[8:9]
	s_branch .LBB68_15
.LBB68_14:                              ;   in Loop: Header=BB68_15 Depth=2
	s_andn2_b64 vcc, exec, s[82:83]
	s_cbranch_vccz .LBB68_18
.LBB68_15:                              ;   Parent Loop BB68_7 Depth=1
                                        ; =>  This Inner Loop Header: Depth=2
	global_load_dwordx4 v[2:5], v8, s[74:75] offset:-8
	global_load_dwordx2 v[16:17], v8, s[76:77]
	s_mov_b64 s[70:71], s[76:77]
	s_mov_b64 s[72:73], s[78:79]
	s_mov_b64 s[80:81], -1
                                        ; implicit-def: $sgpr78_sgpr79
                                        ; implicit-def: $sgpr76_sgpr77
	s_waitcnt vmcnt(1)
	v_cmp_lt_f64_e64 s[82:83], |v[2:3]|, s[64:65]
	v_cndmask_b32_e64 v9, 0, 1, s[82:83]
	v_cmp_lt_f64_e64 s[84:85], |v[4:5]|, s[64:65]
	v_cndmask_b32_e64 v18, 0, 1, s[84:85]
	v_lshlrev_b32_e32 v9, 8, v9
	v_lshlrev_b32_e32 v18, 8, v18
	v_ldexp_f64 v[2:3], |v[2:3]|, v9
	v_ldexp_f64 v[4:5], |v[4:5]|, v18
	v_rsq_f64_e32 v[18:19], v[2:3]
	v_rsq_f64_e32 v[20:21], v[4:5]
	s_and_b64 s[82:83], s[82:83], exec
	s_cselect_b32 s17, 0xffffff80, 0
	v_mul_f64 v[26:27], v[2:3], v[18:19]
	v_mul_f64 v[18:19], v[18:19], 0.5
	v_mul_f64 v[28:29], v[4:5], v[20:21]
	v_mul_f64 v[20:21], v[20:21], 0.5
	v_fma_f64 v[30:31], -v[18:19], v[26:27], 0.5
	v_fma_f64 v[32:33], -v[20:21], v[28:29], 0.5
	v_fmac_f64_e32 v[26:27], v[26:27], v[30:31]
	v_fmac_f64_e32 v[18:19], v[18:19], v[30:31]
	;; [unrolled: 1-line block ×3, first 2 shown]
	v_fma_f64 v[30:31], -v[26:27], v[26:27], v[2:3]
	v_fmac_f64_e32 v[20:21], v[20:21], v[32:33]
	v_fma_f64 v[32:33], -v[28:29], v[28:29], v[4:5]
	v_fmac_f64_e32 v[26:27], v[30:31], v[18:19]
	v_fmac_f64_e32 v[28:29], v[32:33], v[20:21]
	v_fma_f64 v[30:31], -v[26:27], v[26:27], v[2:3]
	s_and_b64 s[82:83], s[84:85], exec
	v_fma_f64 v[32:33], -v[28:29], v[28:29], v[4:5]
	v_fmac_f64_e32 v[26:27], v[30:31], v[18:19]
	s_cselect_b32 s41, 0xffffff80, 0
	v_fmac_f64_e32 v[28:29], v[32:33], v[20:21]
	v_ldexp_f64 v[18:19], v[26:27], s17
	v_cmp_class_f64_e32 vcc, v[2:3], v59
	v_ldexp_f64 v[20:21], v[28:29], s41
	v_cndmask_b32_e32 v3, v19, v3, vcc
	v_cndmask_b32_e32 v2, v18, v2, vcc
	v_cmp_class_f64_e32 vcc, v[4:5], v59
	v_cndmask_b32_e32 v5, v21, v5, vcc
	v_cndmask_b32_e32 v4, v20, v4, vcc
	v_mul_f64 v[2:3], v[2:3], v[4:5]
	v_mul_f64 v[2:3], v[2:3], s[28:29]
	s_waitcnt vmcnt(0)
	v_cmp_nle_f64_e64 s[82:83], |v[16:17]|, v[2:3]
	s_and_b64 vcc, exec, s[82:83]
	s_mov_b64 s[82:83], -1
	s_cbranch_vccz .LBB68_14
; %bb.16:                               ;   in Loop: Header=BB68_15 Depth=2
	s_add_u32 s78, s72, 1
	s_addc_u32 s79, s73, 0
	s_add_u32 s76, s70, 8
	s_addc_u32 s77, s71, 0
	;; [unrolled: 2-line block ×3, first 2 shown]
	s_cmp_ge_i32 s78, s40
	s_mov_b64 s[80:81], 0
	s_cselect_b64 s[82:83], -1, 0
	s_branch .LBB68_14
.LBB68_17:                              ;   in Loop: Header=BB68_7 Depth=1
	s_mov_b32 s17, s8
	s_mov_b64 s[76:77], s[8:9]
	s_and_b64 vcc, exec, s[68:69]
	s_cbranch_vccnz .LBB68_21
	s_branch .LBB68_22
.LBB68_18:                              ;   in Loop: Header=BB68_7 Depth=1
	s_xor_b64 s[42:43], s[80:81], -1
	s_mov_b64 s[74:75], -1
	s_and_b64 vcc, exec, s[42:43]
                                        ; implicit-def: $sgpr76_sgpr77
	s_cbranch_vccz .LBB68_20
; %bb.19:                               ;   in Loop: Header=BB68_7 Depth=1
	s_ashr_i32 s41, s40, 31
	s_mov_b64 s[68:69], -1
	s_mov_b64 s[74:75], 0
	s_mov_b64 s[76:77], s[40:41]
.LBB68_20:                              ;   in Loop: Header=BB68_7 Depth=1
	v_pk_mov_b32 v[16:17], s[72:73], s[72:73] op_sel:[0,1]
	v_pk_mov_b32 v[18:19], s[70:71], s[70:71] op_sel:[0,1]
	;; [unrolled: 1-line block ×3, first 2 shown]
	s_mov_b32 s17, s40
	s_and_b64 vcc, exec, s[68:69]
	s_cbranch_vccz .LBB68_22
.LBB68_21:                              ;   in Loop: Header=BB68_7 Depth=1
	v_mov_b32_e32 v2, s17
	ds_write_b32 v8, v2 offset:20
.LBB68_22:                              ;   in Loop: Header=BB68_7 Depth=1
	s_andn2_b64 vcc, exec, s[74:75]
	v_pk_mov_b32 v[2:3], s[8:9], s[8:9] op_sel:[0,1]
	v_pk_mov_b32 v[4:5], s[76:77], s[76:77] op_sel:[0,1]
	v_mov_b32_e32 v9, s17
	s_cbranch_vccnz .LBB68_24
; %bb.23:                               ;   in Loop: Header=BB68_7 Depth=1
	v_mov_b32_e32 v9, v8
	global_store_dwordx2 v[18:19], v[8:9], off
	v_pk_mov_b32 v[2:3], v[20:21], v[20:21] op_sel:[0,1]
	v_pk_mov_b32 v[4:5], v[16:17], v[16:17] op_sel:[0,1]
	v_mov_b32_e32 v9, v16
	ds_write_b32 v8, v16 offset:20
.LBB68_24:                              ;   in Loop: Header=BB68_7 Depth=1
	v_lshlrev_b64 v[4:5], 3, v[4:5]
	v_mov_b32_e32 v26, s23
	v_add_co_u32_e32 v4, vcc, s22, v4
	v_addc_co_u32_e32 v5, vcc, v26, v5, vcc
	v_lshlrev_b64 v[26:27], 3, v[2:3]
	v_mov_b32_e32 v2, s23
	v_add_co_u32_e32 v28, vcc, s22, v26
	v_addc_co_u32_e32 v29, vcc, v2, v27, vcc
	global_load_dwordx2 v[2:3], v[4:5], off
	s_nop 0
	global_load_dwordx2 v[4:5], v[28:29], off
	v_mov_b32_e32 v29, s8
	v_add_u32_e32 v28, 1, v9
	ds_write_b32 v8, v29 offset:16
	ds_write2_b32 v8, v9, v9 offset0:8 offset1:10
	ds_write_b64 v8, v[28:29] offset:24
	s_waitcnt vmcnt(0)
	v_cmp_lt_f64_e64 s[70:71], |v[2:3]|, |v[4:5]|
	s_and_saveexec_b64 s[68:69], s[70:71]
	s_cbranch_execz .LBB68_26
; %bb.25:                               ;   in Loop: Header=BB68_7 Depth=1
	v_mov_b32_e32 v4, s8
	ds_write2_b32 v8, v9, v4 offset0:4 offset1:8
.LBB68_26:                              ;   in Loop: Header=BB68_7 Depth=1
	s_or_b64 exec, exec, s[68:69]
	v_and_b32_e32 v3, 0x7fffffff, v3
	v_cmp_lt_i32_e32 vcc, s8, v9
	s_and_saveexec_b64 s[68:69], vcc
	s_cbranch_execz .LBB68_30
; %bb.27:                               ;   in Loop: Header=BB68_7 Depth=1
	v_mov_b32_e32 v5, s4
	v_add_co_u32_e32 v4, vcc, s67, v26
	v_addc_co_u32_e32 v5, vcc, v5, v27, vcc
	v_mov_b32_e32 v28, s92
	v_add_co_u32_e32 v26, vcc, s14, v26
	v_addc_co_u32_e32 v27, vcc, v28, v27, vcc
	s_mov_b64 s[70:71], 0
.LBB68_28:                              ;   Parent Loop BB68_7 Depth=1
                                        ; =>  This Inner Loop Header: Depth=2
	global_load_dwordx2 v[28:29], v[26:27], off
	global_load_dwordx2 v[30:31], v[4:5], off
	v_add_co_u32_e32 v4, vcc, 8, v4
	v_addc_co_u32_e32 v5, vcc, 0, v5, vcc
	v_add_co_u32_e32 v26, vcc, 8, v26
	s_add_i32 s8, s8, 1
	v_addc_co_u32_e32 v27, vcc, 0, v27, vcc
	v_max_f64 v[2:3], v[2:3], v[2:3]
	v_cmp_ge_i32_e32 vcc, s8, v9
	s_or_b64 s[70:71], vcc, s[70:71]
	s_waitcnt vmcnt(1)
	v_max_f64 v[28:29], |v[28:29]|, |v[28:29]|
	s_waitcnt vmcnt(0)
	v_max_f64 v[30:31], |v[30:31]|, |v[30:31]|
	v_max_f64 v[28:29], v[30:31], v[28:29]
	v_max_f64 v[2:3], v[2:3], v[28:29]
	s_andn2_b64 exec, exec, s[70:71]
	s_cbranch_execnz .LBB68_28
; %bb.29:                               ;   in Loop: Header=BB68_7 Depth=1
	s_or_b64 exec, exec, s[70:71]
.LBB68_30:                              ;   in Loop: Header=BB68_7 Depth=1
	s_or_b64 exec, exec, s[68:69]
	ds_write_b64 v8, v[2:3] offset:8
.LBB68_31:                              ;   in Loop: Header=BB68_7 Depth=1
	s_or_b64 exec, exec, s[6:7]
	s_waitcnt lgkmcnt(0)
	s_barrier
	ds_read2_b32 v[4:5], v8 offset0:4 offset1:8
	ds_read_b64 v[2:3], v8 offset:8
	s_waitcnt lgkmcnt(1)
	v_readfirstlane_b32 s6, v5
	v_readfirstlane_b32 s7, v4
	s_cmp_eq_u32 s6, s7
	s_cselect_b64 s[6:7], -1, 0
	s_waitcnt lgkmcnt(0)
	v_cmp_eq_f64_e32 vcc, 0, v[2:3]
	s_or_b64 s[6:7], s[6:7], vcc
	s_and_b64 vcc, exec, s[6:7]
	s_cbranch_vccnz .LBB68_129
; %bb.32:                               ;   in Loop: Header=BB68_7 Depth=1
	v_cmp_nlt_f64_e32 vcc, s[44:45], v[2:3]
	s_mov_b64 s[6:7], -1
	s_cbranch_vccz .LBB68_41
; %bb.33:                               ;   in Loop: Header=BB68_7 Depth=1
	v_cmp_ngt_f64_e32 vcc, s[30:31], v[2:3]
	s_cbranch_vccnz .LBB68_40
; %bb.34:                               ;   in Loop: Header=BB68_7 Depth=1
	v_div_scale_f64 v[26:27], s[6:7], s[30:31], s[30:31], v[2:3]
	v_rcp_f64_e32 v[28:29], v[26:27]
	ds_read2_b32 v[4:5], v8 offset0:7 offset1:10
	v_fma_f64 v[30:31], -v[26:27], v[28:29], 1.0
	v_fmac_f64_e32 v[28:29], v[28:29], v[30:31]
	v_fma_f64 v[30:31], -v[26:27], v[28:29], 1.0
	v_fmac_f64_e32 v[28:29], v[28:29], v[30:31]
	v_div_scale_f64 v[30:31], vcc, v[2:3], s[30:31], v[2:3]
	v_mul_f64 v[32:33], v[30:31], v[28:29]
	v_fma_f64 v[26:27], -v[26:27], v[32:33], v[30:31]
	s_nop 1
	v_div_fmas_f64 v[26:27], v[26:27], v[28:29], v[32:33]
	v_div_fixup_f64 v[26:27], v[26:27], s[30:31], v[2:3]
	s_and_saveexec_b64 s[6:7], s[0:1]
	s_cbranch_execz .LBB68_36
; %bb.35:                               ;   in Loop: Header=BB68_7 Depth=1
	s_waitcnt lgkmcnt(0)
	v_ashrrev_i32_e32 v29, 31, v5
	v_mov_b32_e32 v28, v5
	v_lshlrev_b64 v[28:29], 3, v[28:29]
	v_mov_b32_e32 v9, s23
	v_add_co_u32_e32 v28, vcc, s22, v28
	v_addc_co_u32_e32 v29, vcc, v9, v29, vcc
	global_load_dwordx2 v[30:31], v[28:29], off
	s_waitcnt vmcnt(0)
	v_mul_f64 v[30:31], v[26:27], v[30:31]
	global_store_dwordx2 v[28:29], v[30:31], off
.LBB68_36:                              ;   in Loop: Header=BB68_7 Depth=1
	s_or_b64 exec, exec, s[6:7]
	s_waitcnt lgkmcnt(0)
	v_add_u32_e32 v28, v4, v6
	v_cmp_lt_i32_e32 vcc, v28, v5
	s_and_saveexec_b64 s[6:7], vcc
	s_cbranch_execz .LBB68_39
; %bb.37:                               ;   in Loop: Header=BB68_7 Depth=1
	v_ashrrev_i32_e32 v29, 31, v28
	v_lshlrev_b64 v[30:31], 3, v[28:29]
	s_mov_b64 s[8:9], 0
.LBB68_38:                              ;   Parent Loop BB68_7 Depth=1
                                        ; =>  This Inner Loop Header: Depth=2
	v_mov_b32_e32 v4, s23
	v_add_co_u32_e32 v32, vcc, s22, v30
	v_addc_co_u32_e32 v33, vcc, v4, v31, vcc
	global_load_dwordx2 v[34:35], v[32:33], off
	v_mov_b32_e32 v4, s92
	v_add_co_u32_e32 v36, vcc, s14, v30
	v_addc_co_u32_e32 v37, vcc, v4, v31, vcc
	v_mov_b32_e32 v4, s53
	v_add_co_u32_e32 v30, vcc, s52, v30
	v_add_u32_e32 v28, s36, v28
	v_addc_co_u32_e32 v31, vcc, v31, v4, vcc
	v_cmp_ge_i32_e32 vcc, v28, v5
	s_or_b64 s[8:9], vcc, s[8:9]
	s_waitcnt vmcnt(0)
	v_mul_f64 v[34:35], v[26:27], v[34:35]
	global_store_dwordx2 v[32:33], v[34:35], off
	global_load_dwordx2 v[32:33], v[36:37], off
	s_waitcnt vmcnt(0)
	v_mul_f64 v[32:33], v[26:27], v[32:33]
	global_store_dwordx2 v[36:37], v[32:33], off
	s_andn2_b64 exec, exec, s[8:9]
	s_cbranch_execnz .LBB68_38
.LBB68_39:                              ;   in Loop: Header=BB68_7 Depth=1
	s_or_b64 exec, exec, s[6:7]
.LBB68_40:                              ;   in Loop: Header=BB68_7 Depth=1
	s_mov_b64 s[6:7], 0
.LBB68_41:                              ;   in Loop: Header=BB68_7 Depth=1
	s_andn2_b64 vcc, exec, s[6:7]
	s_cbranch_vccnz .LBB68_48
; %bb.42:                               ;   in Loop: Header=BB68_7 Depth=1
	v_div_scale_f64 v[26:27], s[6:7], s[44:45], s[44:45], v[2:3]
	v_rcp_f64_e32 v[28:29], v[26:27]
	ds_read2_b32 v[4:5], v8 offset0:7 offset1:10
	v_fma_f64 v[30:31], -v[26:27], v[28:29], 1.0
	v_fmac_f64_e32 v[28:29], v[28:29], v[30:31]
	v_fma_f64 v[30:31], -v[26:27], v[28:29], 1.0
	v_fmac_f64_e32 v[28:29], v[28:29], v[30:31]
	v_div_scale_f64 v[30:31], vcc, v[2:3], s[44:45], v[2:3]
	v_mul_f64 v[32:33], v[30:31], v[28:29]
	v_fma_f64 v[26:27], -v[26:27], v[32:33], v[30:31]
	s_nop 1
	v_div_fmas_f64 v[26:27], v[26:27], v[28:29], v[32:33]
	v_div_fixup_f64 v[2:3], v[26:27], s[44:45], v[2:3]
	s_and_saveexec_b64 s[6:7], s[0:1]
	s_cbranch_execz .LBB68_44
; %bb.43:                               ;   in Loop: Header=BB68_7 Depth=1
	s_waitcnt lgkmcnt(0)
	v_ashrrev_i32_e32 v27, 31, v5
	v_mov_b32_e32 v26, v5
	v_lshlrev_b64 v[26:27], 3, v[26:27]
	v_mov_b32_e32 v9, s23
	v_add_co_u32_e32 v26, vcc, s22, v26
	v_addc_co_u32_e32 v27, vcc, v9, v27, vcc
	global_load_dwordx2 v[28:29], v[26:27], off
	s_waitcnt vmcnt(0)
	v_mul_f64 v[28:29], v[2:3], v[28:29]
	global_store_dwordx2 v[26:27], v[28:29], off
.LBB68_44:                              ;   in Loop: Header=BB68_7 Depth=1
	s_or_b64 exec, exec, s[6:7]
	s_waitcnt lgkmcnt(0)
	v_add_u32_e32 v26, v4, v6
	v_cmp_lt_i32_e32 vcc, v26, v5
	s_and_saveexec_b64 s[6:7], vcc
	s_cbranch_execz .LBB68_47
; %bb.45:                               ;   in Loop: Header=BB68_7 Depth=1
	v_ashrrev_i32_e32 v27, 31, v26
	v_lshlrev_b64 v[28:29], 3, v[26:27]
	s_mov_b64 s[8:9], 0
.LBB68_46:                              ;   Parent Loop BB68_7 Depth=1
                                        ; =>  This Inner Loop Header: Depth=2
	v_mov_b32_e32 v4, s23
	v_add_co_u32_e32 v30, vcc, s22, v28
	v_addc_co_u32_e32 v31, vcc, v4, v29, vcc
	global_load_dwordx2 v[32:33], v[30:31], off
	v_mov_b32_e32 v4, s92
	v_add_co_u32_e32 v34, vcc, s14, v28
	v_addc_co_u32_e32 v35, vcc, v4, v29, vcc
	v_mov_b32_e32 v4, s53
	v_add_co_u32_e32 v28, vcc, s52, v28
	v_add_u32_e32 v26, s36, v26
	v_addc_co_u32_e32 v29, vcc, v29, v4, vcc
	v_cmp_ge_i32_e32 vcc, v26, v5
	s_or_b64 s[8:9], vcc, s[8:9]
	s_waitcnt vmcnt(0)
	v_mul_f64 v[32:33], v[2:3], v[32:33]
	global_store_dwordx2 v[30:31], v[32:33], off
	global_load_dwordx2 v[30:31], v[34:35], off
	s_waitcnt vmcnt(0)
	v_mul_f64 v[30:31], v[2:3], v[30:31]
	global_store_dwordx2 v[34:35], v[30:31], off
	s_andn2_b64 exec, exec, s[8:9]
	s_cbranch_execnz .LBB68_46
.LBB68_47:                              ;   in Loop: Header=BB68_7 Depth=1
	s_or_b64 exec, exec, s[6:7]
.LBB68_48:                              ;   in Loop: Header=BB68_7 Depth=1
	s_barrier
	ds_read_b32 v26, v8 offset:16
	ds_read_b64 v[28:29], v8 offset:32
	s_waitcnt lgkmcnt(0)
	v_cmp_gt_i32_e64 s[6:7], s33, v29
	v_cmp_lt_i32_e32 vcc, v28, v26
	v_cndmask_b32_e64 v2, 0, 1, s[6:7]
	v_cmp_ne_u32_e64 s[6:7], 1, v2
	s_cbranch_vccnz .LBB68_130
; %bb.49:                               ;   in Loop: Header=BB68_7 Depth=1
	s_and_b64 vcc, exec, s[6:7]
	v_pk_mov_b32 v[32:33], v[24:25], v[24:25] op_sel:[0,1]
	v_pk_mov_b32 v[30:31], v[22:23], v[22:23] op_sel:[0,1]
	v_mov_b32_e32 v63, v62
	v_mov_b32_e32 v41, v29
	;; [unrolled: 1-line block ×4, first 2 shown]
	s_cbranch_vccz .LBB68_53
.LBB68_50:                              ;   in Loop: Header=BB68_7 Depth=1
	s_cbranch_execz .LBB68_131
	s_branch .LBB68_133
.LBB68_51:                              ;   in Loop: Header=BB68_53 Depth=2
	s_or_b64 exec, exec, s[68:69]
	s_barrier
	ds_read_b32 v34, v8 offset:16
.LBB68_52:                              ;   in Loop: Header=BB68_53 Depth=2
	ds_read_b64 v[40:41], v8 offset:32
	s_waitcnt lgkmcnt(0)
	v_cmp_le_i32_e32 vcc, v34, v40
	v_cmp_gt_i32_e64 s[8:9], s33, v41
	s_and_b64 s[8:9], vcc, s[8:9]
	s_andn2_b64 vcc, exec, s[8:9]
	s_cbranch_vccnz .LBB68_50
.LBB68_53:                              ;   Parent Loop BB68_7 Depth=1
                                        ; =>  This Loop Header: Depth=2
                                        ;       Child Loop BB68_61 Depth 3
                                        ;       Child Loop BB68_80 Depth 3
	;; [unrolled: 1-line block ×3, first 2 shown]
                                        ;         Child Loop BB68_127 Depth 4
	s_and_saveexec_b64 s[68:69], s[0:1]
	s_cbranch_execz .LBB68_122
; %bb.54:                               ;   in Loop: Header=BB68_53 Depth=2
	v_cmp_lt_i32_e32 vcc, v34, v40
	s_mov_b64 s[8:9], 0
	s_cbranch_vccnz .LBB68_58
; %bb.55:                               ;   in Loop: Header=BB68_53 Depth=2
	v_ashrrev_i32_e32 v35, 31, v34
	s_mov_b64 s[70:71], -1
	v_pk_mov_b32 v[4:5], v[34:35], v[34:35] op_sel:[0,1]
	v_mov_b32_e32 v2, v34
	s_cbranch_execz .LBB68_59
; %bb.56:                               ;   in Loop: Header=BB68_53 Depth=2
	s_and_b64 vcc, exec, s[70:71]
	s_cbranch_vccz .LBB68_64
.LBB68_57:                              ;   in Loop: Header=BB68_53 Depth=2
	ds_write2_b32 v8, v2, v34 offset0:5 offset1:7
	s_cbranch_execz .LBB68_65
	s_branch .LBB68_66
.LBB68_58:                              ;   in Loop: Header=BB68_53 Depth=2
                                        ; implicit-def: $vgpr4_vgpr5
	s_mov_b64 s[70:71], 0
	v_mov_b32_e32 v2, v34
.LBB68_59:                              ;   in Loop: Header=BB68_53 Depth=2
	v_ashrrev_i32_e32 v35, 31, v34
	v_lshlrev_b64 v[2:3], 3, v[34:35]
	v_mov_b32_e32 v5, s92
	v_add_co_u32_e32 v4, vcc, s14, v2
	v_addc_co_u32_e32 v5, vcc, v5, v3, vcc
	v_mov_b32_e32 v9, s4
	v_add_co_u32_e32 v2, vcc, s67, v2
	v_addc_co_u32_e32 v3, vcc, v9, v3, vcc
	v_mov_b32_e32 v9, v34
	s_branch .LBB68_61
.LBB68_60:                              ;   in Loop: Header=BB68_61 Depth=3
	v_add_co_u32_e32 v4, vcc, 8, v30
	v_addc_co_u32_e32 v5, vcc, 0, v31, vcc
	v_add_u32_e32 v9, 1, v63
	v_add_co_u32_e32 v2, vcc, 8, v2
	v_addc_co_u32_e32 v3, vcc, 0, v3, vcc
	s_mov_b64 s[8:9], 0
	v_cmp_ge_i32_e64 s[70:71], v9, v40
	s_andn2_b64 vcc, exec, s[70:71]
	s_cbranch_vccz .LBB68_63
.LBB68_61:                              ;   Parent Loop BB68_7 Depth=1
                                        ;     Parent Loop BB68_53 Depth=2
                                        ; =>    This Inner Loop Header: Depth=3
	v_pk_mov_b32 v[30:31], v[4:5], v[4:5] op_sel:[0,1]
	global_load_dwordx4 v[36:39], v[2:3], off
	s_nop 0
	global_load_dwordx2 v[4:5], v[4:5], off
	v_mov_b32_e32 v63, v9
	s_waitcnt vmcnt(1)
	v_mul_f64 v[32:33], v[36:37], v[38:39]
	s_waitcnt vmcnt(0)
	v_mul_f64 v[4:5], v[4:5], v[4:5]
	v_mul_f64 v[32:33], v[10:11], |v[32:33]|
	v_cmp_le_f64_e64 s[8:9], |v[4:5]|, v[32:33]
	s_and_b64 vcc, exec, s[8:9]
	s_cbranch_vccz .LBB68_60
; %bb.62:                               ;   in Loop: Header=BB68_53 Depth=2
	s_mov_b64 s[8:9], -1
                                        ; implicit-def: $vgpr9
                                        ; implicit-def: $vgpr4_vgpr5
                                        ; implicit-def: $vgpr2_vgpr3
.LBB68_63:                              ;   in Loop: Header=BB68_53 Depth=2
	s_xor_b64 s[70:71], s[8:9], -1
	s_mov_b64 s[8:9], -1
	v_pk_mov_b32 v[32:33], v[34:35], v[34:35] op_sel:[0,1]
	v_mov_b32_e32 v2, v40
	v_pk_mov_b32 v[4:5], v[34:35], v[34:35] op_sel:[0,1]
	s_and_b64 vcc, exec, s[70:71]
	s_cbranch_vccnz .LBB68_57
.LBB68_64:                              ;   in Loop: Header=BB68_53 Depth=2
                                        ; implicit-def: $vgpr2
                                        ; implicit-def: $vgpr4_vgpr5
	s_andn2_b64 vcc, exec, s[8:9]
	s_cbranch_vccnz .LBB68_66
.LBB68_65:                              ;   in Loop: Header=BB68_53 Depth=2
	v_mov_b32_e32 v9, v8
	v_pk_mov_b32 v[4:5], v[32:33], v[32:33] op_sel:[0,1]
	v_mov_b32_e32 v2, v63
	ds_write2_b32 v8, v63, v34 offset0:5 offset1:7
	global_store_dwordx2 v[30:31], v[8:9], off
.LBB68_66:                              ;   in Loop: Header=BB68_53 Depth=2
	v_lshlrev_b64 v[38:39], 3, v[4:5]
	v_mov_b32_e32 v3, s23
	v_add_co_u32_e32 v36, vcc, s22, v38
	v_addc_co_u32_e32 v37, vcc, v3, v39, vcc
	global_load_dwordx2 v[44:45], v[36:37], off
	v_cmp_ne_u32_e32 vcc, v2, v34
	v_add_u32_e32 v3, 1, v34
	s_waitcnt vmcnt(0)
	ds_write_b64 v8, v[44:45]
	s_and_saveexec_b64 s[8:9], vcc
	s_xor_b64 s[70:71], exec, s[8:9]
	s_cbranch_execz .LBB68_119
; %bb.67:                               ;   in Loop: Header=BB68_53 Depth=2
	v_cmp_ne_u32_e32 vcc, v2, v3
	s_and_saveexec_b64 s[8:9], vcc
	s_xor_b64 s[72:73], exec, s[8:9]
	s_cbranch_execz .LBB68_95
; %bb.68:                               ;   in Loop: Header=BB68_53 Depth=2
	v_mov_b32_e32 v3, s92
	v_add_co_u32_e32 v4, vcc, s14, v38
	v_addc_co_u32_e32 v5, vcc, v3, v39, vcc
	global_load_dwordx2 v[52:53], v[36:37], off offset:8
	global_load_dwordx2 v[42:43], v[4:5], off
	v_ashrrev_i32_e32 v3, 31, v2
	v_lshlrev_b64 v[50:51], 3, v[2:3]
	v_mov_b32_e32 v9, s23
	v_add_co_u32_e32 v46, vcc, s22, v50
	v_addc_co_u32_e32 v47, vcc, v9, v51, vcc
	global_load_dwordx2 v[48:49], v[46:47], off
	v_add_u32_e32 v3, 1, v41
	v_mov_b32_e32 v9, v8
	ds_write_b32 v8, v3 offset:36
	ds_write_b64 v8, v[8:9]
	v_mov_b32_e32 v38, 0
	v_mov_b32_e32 v39, 0x3ff00000
	s_waitcnt vmcnt(2)
	v_add_f64 v[40:41], v[52:53], -v[44:45]
	s_waitcnt vmcnt(1)
	v_add_f64 v[52:53], v[42:43], v[42:43]
	v_div_scale_f64 v[54:55], s[8:9], v[52:53], v[52:53], v[40:41]
	v_rcp_f64_e32 v[56:57], v[54:55]
	v_div_scale_f64 v[64:65], vcc, v[40:41], v[52:53], v[40:41]
	v_cmp_gt_i32_e64 s[8:9], v2, v34
	v_fma_f64 v[66:67], -v[54:55], v[56:57], 1.0
	v_fmac_f64_e32 v[56:57], v[56:57], v[66:67]
	v_fma_f64 v[66:67], -v[54:55], v[56:57], 1.0
	v_fmac_f64_e32 v[56:57], v[56:57], v[66:67]
	v_mul_f64 v[66:67], v[64:65], v[56:57]
	v_fma_f64 v[54:55], -v[54:55], v[66:67], v[64:65]
	v_div_fmas_f64 v[54:55], v[54:55], v[56:57], v[66:67]
	v_div_fixup_f64 v[40:41], v[54:55], v[52:53], v[40:41]
	v_fma_f64 v[52:53], v[40:41], v[40:41], 1.0
	v_cmp_gt_f64_e32 vcc, s[64:65], v[52:53]
	v_cndmask_b32_e64 v27, 0, 1, vcc
	v_lshlrev_b32_e32 v27, 8, v27
	v_ldexp_f64 v[52:53], v[52:53], v27
	v_rsq_f64_e32 v[54:55], v[52:53]
	v_cndmask_b32_e32 v3, 0, v60, vcc
	v_cmp_class_f64_e32 vcc, v[52:53], v59
	v_mul_f64 v[56:57], v[52:53], v[54:55]
	v_mul_f64 v[54:55], v[54:55], 0.5
	v_fma_f64 v[64:65], -v[54:55], v[56:57], 0.5
	v_fmac_f64_e32 v[56:57], v[56:57], v[64:65]
	v_fmac_f64_e32 v[54:55], v[54:55], v[64:65]
	v_fma_f64 v[64:65], -v[56:57], v[56:57], v[52:53]
	v_fmac_f64_e32 v[56:57], v[64:65], v[54:55]
	v_fma_f64 v[64:65], -v[56:57], v[56:57], v[52:53]
	v_fmac_f64_e32 v[56:57], v[64:65], v[54:55]
	v_ldexp_f64 v[54:55], v[56:57], v3
	v_cndmask_b32_e32 v3, v55, v53, vcc
	v_cndmask_b32_e32 v52, v54, v52, vcc
	v_and_b32_e32 v9, 0x7fffffff, v3
	v_or_b32_e32 v3, 0x80000000, v3
	v_cmp_nle_f64_e32 vcc, 0, v[40:41]
	v_cndmask_b32_e32 v53, v9, v3, vcc
	v_add_f64 v[40:41], v[40:41], v[52:53]
	v_div_scale_f64 v[52:53], s[74:75], v[40:41], v[40:41], v[42:43]
	v_rcp_f64_e32 v[54:55], v[52:53]
	v_div_scale_f64 v[64:65], vcc, v[42:43], v[40:41], v[42:43]
	s_waitcnt vmcnt(0)
	v_add_f64 v[56:57], v[48:49], -v[44:45]
	v_fma_f64 v[66:67], -v[52:53], v[54:55], 1.0
	v_fmac_f64_e32 v[54:55], v[54:55], v[66:67]
	v_fma_f64 v[66:67], -v[52:53], v[54:55], 1.0
	v_fmac_f64_e32 v[54:55], v[54:55], v[66:67]
	v_mul_f64 v[66:67], v[64:65], v[54:55]
	v_fma_f64 v[52:53], -v[52:53], v[66:67], v[64:65]
	v_div_fmas_f64 v[52:53], v[52:53], v[54:55], v[66:67]
	v_div_fixup_f64 v[40:41], v[52:53], v[40:41], v[42:43]
	v_add_f64 v[40:41], v[56:57], v[40:41]
	v_pk_mov_b32 v[42:43], 0, 0
	s_and_saveexec_b64 s[74:75], s[8:9]
	s_cbranch_execz .LBB68_94
; %bb.69:                               ;   in Loop: Header=BB68_53 Depth=2
	v_mov_b32_e32 v3, s49
	v_add_co_u32_e32 v42, vcc, s48, v50
	v_addc_co_u32_e32 v43, vcc, v3, v51, vcc
	global_load_dwordx2 v[44:45], v[42:43], off
	v_pk_mov_b32 v[52:53], 0, 0
	s_waitcnt vmcnt(0)
	v_cmp_neq_f64_e32 vcc, 0, v[44:45]
	s_and_saveexec_b64 s[8:9], vcc
	s_cbranch_execz .LBB68_77
; %bb.70:                               ;   in Loop: Header=BB68_53 Depth=2
	v_mov_b32_e32 v52, 0
	v_cmp_neq_f64_e32 vcc, 0, v[40:41]
	v_mov_b32_e32 v53, 0x3ff00000
	v_pk_mov_b32 v[38:39], 0, 0
	s_and_saveexec_b64 s[76:77], vcc
	s_cbranch_execz .LBB68_76
; %bb.71:                               ;   in Loop: Header=BB68_53 Depth=2
	v_cmp_ngt_f64_e64 s[78:79], |v[44:45]|, |v[40:41]|
                                        ; implicit-def: $vgpr52_vgpr53
                                        ; implicit-def: $vgpr38_vgpr39
	s_and_saveexec_b64 s[80:81], s[78:79]
	s_xor_b64 s[78:79], exec, s[80:81]
	s_cbranch_execz .LBB68_73
; %bb.72:                               ;   in Loop: Header=BB68_53 Depth=2
	v_div_scale_f64 v[38:39], s[80:81], v[40:41], v[40:41], -v[44:45]
	v_rcp_f64_e32 v[42:43], v[38:39]
	v_div_scale_f64 v[52:53], vcc, -v[44:45], v[40:41], -v[44:45]
	v_fma_f64 v[54:55], -v[38:39], v[42:43], 1.0
	v_fmac_f64_e32 v[42:43], v[42:43], v[54:55]
	v_fma_f64 v[54:55], -v[38:39], v[42:43], 1.0
	v_fmac_f64_e32 v[42:43], v[42:43], v[54:55]
	v_mul_f64 v[54:55], v[52:53], v[42:43]
	v_fma_f64 v[38:39], -v[38:39], v[54:55], v[52:53]
	v_div_fmas_f64 v[38:39], v[38:39], v[42:43], v[54:55]
	v_div_fixup_f64 v[40:41], v[38:39], v[40:41], -v[44:45]
	v_fma_f64 v[38:39], v[40:41], v[40:41], 1.0
	v_cmp_gt_f64_e32 vcc, s[64:65], v[38:39]
	v_cndmask_b32_e64 v3, 0, 1, vcc
	v_lshlrev_b32_e32 v3, 8, v3
	v_ldexp_f64 v[38:39], v[38:39], v3
	v_rsq_f64_e32 v[42:43], v[38:39]
	v_cndmask_b32_e32 v3, 0, v60, vcc
	v_cmp_class_f64_e32 vcc, v[38:39], v59
	v_mul_f64 v[52:53], v[38:39], v[42:43]
	v_mul_f64 v[42:43], v[42:43], 0.5
	v_fma_f64 v[54:55], -v[42:43], v[52:53], 0.5
	v_fmac_f64_e32 v[52:53], v[52:53], v[54:55]
	v_fma_f64 v[56:57], -v[52:53], v[52:53], v[38:39]
	v_fmac_f64_e32 v[42:43], v[42:43], v[54:55]
	v_fmac_f64_e32 v[52:53], v[56:57], v[42:43]
	v_fma_f64 v[54:55], -v[52:53], v[52:53], v[38:39]
	v_fmac_f64_e32 v[52:53], v[54:55], v[42:43]
	v_ldexp_f64 v[42:43], v[52:53], v3
	v_cndmask_b32_e32 v39, v43, v39, vcc
	v_cndmask_b32_e32 v38, v42, v38, vcc
	v_div_scale_f64 v[42:43], s[80:81], v[38:39], v[38:39], 1.0
	v_rcp_f64_e32 v[52:53], v[42:43]
	v_fma_f64 v[54:55], -v[42:43], v[52:53], 1.0
	v_fmac_f64_e32 v[52:53], v[52:53], v[54:55]
	v_fma_f64 v[54:55], -v[42:43], v[52:53], 1.0
	v_fmac_f64_e32 v[52:53], v[52:53], v[54:55]
	v_div_scale_f64 v[54:55], vcc, 1.0, v[38:39], 1.0
	v_mul_f64 v[56:57], v[54:55], v[52:53]
	v_fma_f64 v[42:43], -v[42:43], v[56:57], v[54:55]
	s_nop 1
	v_div_fmas_f64 v[42:43], v[42:43], v[52:53], v[56:57]
	v_div_fixup_f64 v[38:39], v[42:43], v[38:39], 1.0
	v_mul_f64 v[52:53], v[40:41], v[38:39]
                                        ; implicit-def: $vgpr40_vgpr41
.LBB68_73:                              ;   in Loop: Header=BB68_53 Depth=2
	s_andn2_saveexec_b64 s[78:79], s[78:79]
	s_cbranch_execz .LBB68_75
; %bb.74:                               ;   in Loop: Header=BB68_53 Depth=2
	v_div_scale_f64 v[38:39], s[80:81], v[44:45], v[44:45], -v[40:41]
	v_rcp_f64_e32 v[42:43], v[38:39]
	v_div_scale_f64 v[52:53], vcc, -v[40:41], v[44:45], -v[40:41]
	v_fma_f64 v[54:55], -v[38:39], v[42:43], 1.0
	v_fmac_f64_e32 v[42:43], v[42:43], v[54:55]
	v_fma_f64 v[54:55], -v[38:39], v[42:43], 1.0
	v_fmac_f64_e32 v[42:43], v[42:43], v[54:55]
	v_mul_f64 v[54:55], v[52:53], v[42:43]
	v_fma_f64 v[38:39], -v[38:39], v[54:55], v[52:53]
	v_div_fmas_f64 v[38:39], v[38:39], v[42:43], v[54:55]
	v_div_fixup_f64 v[38:39], v[38:39], v[44:45], -v[40:41]
	v_fma_f64 v[40:41], v[38:39], v[38:39], 1.0
	v_cmp_gt_f64_e32 vcc, s[64:65], v[40:41]
	v_cndmask_b32_e64 v3, 0, 1, vcc
	v_lshlrev_b32_e32 v3, 8, v3
	v_ldexp_f64 v[40:41], v[40:41], v3
	v_rsq_f64_e32 v[42:43], v[40:41]
	v_cndmask_b32_e32 v3, 0, v60, vcc
	v_cmp_class_f64_e32 vcc, v[40:41], v59
	v_mul_f64 v[52:53], v[40:41], v[42:43]
	v_mul_f64 v[42:43], v[42:43], 0.5
	v_fma_f64 v[54:55], -v[42:43], v[52:53], 0.5
	v_fmac_f64_e32 v[52:53], v[52:53], v[54:55]
	v_fma_f64 v[56:57], -v[52:53], v[52:53], v[40:41]
	v_fmac_f64_e32 v[42:43], v[42:43], v[54:55]
	v_fmac_f64_e32 v[52:53], v[56:57], v[42:43]
	v_fma_f64 v[54:55], -v[52:53], v[52:53], v[40:41]
	v_fmac_f64_e32 v[52:53], v[54:55], v[42:43]
	v_ldexp_f64 v[42:43], v[52:53], v3
	v_cndmask_b32_e32 v41, v43, v41, vcc
	v_cndmask_b32_e32 v40, v42, v40, vcc
	v_div_scale_f64 v[42:43], s[80:81], v[40:41], v[40:41], 1.0
	v_rcp_f64_e32 v[52:53], v[42:43]
	v_fma_f64 v[54:55], -v[42:43], v[52:53], 1.0
	v_fmac_f64_e32 v[52:53], v[52:53], v[54:55]
	v_fma_f64 v[54:55], -v[42:43], v[52:53], 1.0
	v_fmac_f64_e32 v[52:53], v[52:53], v[54:55]
	v_div_scale_f64 v[54:55], vcc, 1.0, v[40:41], 1.0
	v_mul_f64 v[56:57], v[54:55], v[52:53]
	v_fma_f64 v[42:43], -v[42:43], v[56:57], v[54:55]
	s_nop 1
	v_div_fmas_f64 v[42:43], v[42:43], v[52:53], v[56:57]
	v_div_fixup_f64 v[52:53], v[42:43], v[40:41], 1.0
	v_mul_f64 v[38:39], v[38:39], v[52:53]
.LBB68_75:                              ;   in Loop: Header=BB68_53 Depth=2
	s_or_b64 exec, exec, s[78:79]
.LBB68_76:                              ;   in Loop: Header=BB68_53 Depth=2
	s_or_b64 exec, exec, s[76:77]
.LBB68_77:                              ;   in Loop: Header=BB68_53 Depth=2
	s_or_b64 exec, exec, s[8:9]
	global_load_dwordx2 v[40:41], v[46:47], off offset:-8
	v_mov_b32_e32 v3, s51
	v_add_co_u32_e32 v50, vcc, s50, v50
	v_addc_co_u32_e32 v51, vcc, v3, v51, vcc
	v_add_f64 v[42:43], v[38:39], v[38:39]
	v_mov_b32_e32 v9, s55
	v_add_co_u32_e32 v56, vcc, s54, v50
	v_add_u32_e32 v54, -1, v2
	v_addc_co_u32_e32 v57, vcc, v51, v9, vcc
	v_cmp_gt_i32_e32 vcc, v54, v34
	s_waitcnt vmcnt(0)
	v_add_f64 v[40:41], v[40:41], -v[48:49]
	v_mul_f64 v[40:41], v[52:53], v[40:41]
	v_fma_f64 v[40:41], v[44:45], v[42:43], -v[40:41]
	v_mul_f64 v[42:43], v[40:41], -v[52:53]
	v_fma_f64 v[48:49], v[40:41], -v[52:53], v[48:49]
	v_fma_f64 v[40:41], v[38:39], v[40:41], -v[44:45]
	ds_write_b64 v8, v[42:43]
	global_store_dwordx2 v[46:47], v[48:49], off
	global_store_dwordx2 v[50:51], v[38:39], off
	global_store_dwordx2 v[56:57], v[52:53], off offset:-8
	s_and_saveexec_b64 s[8:9], vcc
	s_cbranch_execz .LBB68_93
; %bb.78:                               ;   in Loop: Header=BB68_53 Depth=2
	v_ashrrev_i32_e32 v55, 31, v54
	v_readlane_b32 s82, v70, 8
	v_xor_b32_e32 v53, 0x80000000, v53
	v_lshlrev_b64 v[44:45], 3, v[54:55]
	s_mov_b32 s17, -1
	s_mov_b64 s[76:77], 0
	s_mov_b64 s[78:79], s[48:49]
	;; [unrolled: 1-line block ×3, first 2 shown]
	v_readlane_b32 s83, v70, 9
	s_mov_b64 s[84:85], s[50:51]
	s_branch .LBB68_80
.LBB68_79:                              ;   in Loop: Header=BB68_80 Depth=3
	v_mov_b32_e32 v3, s81
	v_add_co_u32_e32 v64, vcc, s80, v44
	v_addc_co_u32_e32 v65, vcc, v3, v45, vcc
	global_load_dwordx4 v[48:51], v[64:65], off offset:-8
	v_mul_f64 v[38:39], v[38:39], v[46:47]
	v_mov_b32_e32 v3, s85
	v_add_co_u32_e32 v46, vcc, s84, v44
	s_add_u32 s84, s84, -8
	v_addc_co_u32_e32 v47, vcc, v3, v45, vcc
	s_addc_u32 s85, s85, -1
	v_add_co_u32_e32 v66, vcc, s82, v44
	s_add_u32 s82, s82, -8
	v_mov_b32_e32 v9, s83
	s_addc_u32 s83, s83, -1
	s_add_i32 s17, s17, -1
	s_add_u32 s80, s80, -8
	s_addc_u32 s81, s81, -1
	v_add_f64 v[40:41], v[54:55], v[54:55]
	v_addc_co_u32_e32 v67, vcc, v9, v45, vcc
	v_add_u32_e32 v3, s17, v2
	s_add_u32 s78, s78, -8
	v_cmp_le_i32_e32 vcc, v3, v34
	s_addc_u32 s79, s79, -1
	v_xor_b32_e32 v53, 0x80000000, v57
	v_mov_b32_e32 v52, v56
	s_or_b64 s[76:77], vcc, s[76:77]
	s_waitcnt vmcnt(0)
	v_add_f64 v[50:51], v[50:51], -v[42:43]
	v_add_f64 v[42:43], v[48:49], -v[50:51]
	v_mul_f64 v[42:43], v[56:57], v[42:43]
	v_fma_f64 v[40:41], v[38:39], v[40:41], -v[42:43]
	v_mul_f64 v[42:43], v[40:41], -v[56:57]
	v_fma_f64 v[48:49], v[40:41], -v[56:57], v[50:51]
	v_fma_f64 v[40:41], v[54:55], v[40:41], -v[38:39]
	v_pk_mov_b32 v[38:39], v[54:55], v[54:55] op_sel:[0,1]
	global_store_dwordx2 v[64:65], v[48:49], off
	global_store_dwordx2 v[46:47], v[54:55], off
	;; [unrolled: 1-line block ×3, first 2 shown]
	s_andn2_b64 exec, exec, s[76:77]
	s_cbranch_execz .LBB68_92
.LBB68_80:                              ;   Parent Loop BB68_7 Depth=1
                                        ;     Parent Loop BB68_53 Depth=2
                                        ; =>    This Inner Loop Header: Depth=3
	v_mov_b32_e32 v3, s79
	v_add_co_u32_e32 v48, vcc, s78, v44
	v_addc_co_u32_e32 v49, vcc, v3, v45, vcc
	global_load_dwordx2 v[46:47], v[48:49], off
	v_mov_b32_e32 v54, 0
	v_mov_b32_e32 v55, 0x3ff00000
	v_pk_mov_b32 v[56:57], 0, 0
	s_waitcnt vmcnt(0)
	v_mul_f64 v[50:51], v[52:53], v[46:47]
	v_cmp_neq_f64_e32 vcc, 0, v[50:51]
	s_and_saveexec_b64 s[86:87], vcc
	s_cbranch_execz .LBB68_90
; %bb.81:                               ;   in Loop: Header=BB68_80 Depth=3
	v_cmp_neq_f64_e32 vcc, 0, v[40:41]
                                        ; implicit-def: $vgpr56_vgpr57
                                        ; implicit-def: $vgpr54_vgpr55
	s_and_saveexec_b64 s[88:89], vcc
	s_xor_b64 s[88:89], exec, s[88:89]
	s_cbranch_execz .LBB68_87
; %bb.82:                               ;   in Loop: Header=BB68_80 Depth=3
	v_cmp_ngt_f64_e64 s[90:91], |v[50:51]|, |v[40:41]|
                                        ; implicit-def: $vgpr56_vgpr57
                                        ; implicit-def: $vgpr54_vgpr55
	s_and_saveexec_b64 vcc, s[90:91]
	s_xor_b64 s[90:91], exec, vcc
	s_cbranch_execz .LBB68_84
; %bb.83:                               ;   in Loop: Header=BB68_80 Depth=3
	v_div_scale_f64 v[52:53], s[42:43], v[40:41], v[40:41], -v[50:51]
	v_rcp_f64_e32 v[54:55], v[52:53]
	v_div_scale_f64 v[56:57], vcc, -v[50:51], v[40:41], -v[50:51]
	v_fma_f64 v[64:65], -v[52:53], v[54:55], 1.0
	v_fmac_f64_e32 v[54:55], v[54:55], v[64:65]
	v_fma_f64 v[64:65], -v[52:53], v[54:55], 1.0
	v_fmac_f64_e32 v[54:55], v[54:55], v[64:65]
	v_mul_f64 v[64:65], v[56:57], v[54:55]
	v_fma_f64 v[52:53], -v[52:53], v[64:65], v[56:57]
	v_div_fmas_f64 v[52:53], v[52:53], v[54:55], v[64:65]
	v_div_fixup_f64 v[52:53], v[52:53], v[40:41], -v[50:51]
	v_fma_f64 v[54:55], v[52:53], v[52:53], 1.0
	v_cmp_gt_f64_e32 vcc, s[64:65], v[54:55]
	v_cndmask_b32_e64 v3, 0, 1, vcc
	v_lshlrev_b32_e32 v3, 8, v3
	v_ldexp_f64 v[54:55], v[54:55], v3
	v_rsq_f64_e32 v[56:57], v[54:55]
	v_cndmask_b32_e32 v3, 0, v60, vcc
	v_cmp_class_f64_e32 vcc, v[54:55], v59
	v_mul_f64 v[64:65], v[54:55], v[56:57]
	v_mul_f64 v[56:57], v[56:57], 0.5
	v_fma_f64 v[66:67], -v[56:57], v[64:65], 0.5
	v_fmac_f64_e32 v[64:65], v[64:65], v[66:67]
	v_fmac_f64_e32 v[56:57], v[56:57], v[66:67]
	v_fma_f64 v[66:67], -v[64:65], v[64:65], v[54:55]
	v_fmac_f64_e32 v[64:65], v[66:67], v[56:57]
	v_fma_f64 v[66:67], -v[64:65], v[64:65], v[54:55]
	v_fmac_f64_e32 v[64:65], v[66:67], v[56:57]
	v_ldexp_f64 v[56:57], v[64:65], v3
	v_cndmask_b32_e32 v55, v57, v55, vcc
	v_cndmask_b32_e32 v54, v56, v54, vcc
	v_div_scale_f64 v[56:57], s[42:43], v[54:55], v[54:55], 1.0
	v_rcp_f64_e32 v[64:65], v[56:57]
	v_fma_f64 v[66:67], -v[56:57], v[64:65], 1.0
	v_fmac_f64_e32 v[64:65], v[64:65], v[66:67]
	v_fma_f64 v[66:67], -v[56:57], v[64:65], 1.0
	v_fmac_f64_e32 v[64:65], v[64:65], v[66:67]
	v_div_scale_f64 v[66:67], vcc, 1.0, v[54:55], 1.0
	v_mul_f64 v[68:69], v[66:67], v[64:65]
	v_fma_f64 v[56:57], -v[56:57], v[68:69], v[66:67]
	s_nop 1
	v_div_fmas_f64 v[56:57], v[56:57], v[64:65], v[68:69]
	v_div_fixup_f64 v[54:55], v[56:57], v[54:55], 1.0
	v_mul_f64 v[56:57], v[52:53], v[54:55]
.LBB68_84:                              ;   in Loop: Header=BB68_80 Depth=3
	s_andn2_saveexec_b64 s[90:91], s[90:91]
	s_cbranch_execz .LBB68_86
; %bb.85:                               ;   in Loop: Header=BB68_80 Depth=3
	v_div_scale_f64 v[52:53], s[42:43], v[50:51], v[50:51], -v[40:41]
	v_rcp_f64_e32 v[54:55], v[52:53]
	v_div_scale_f64 v[56:57], vcc, -v[40:41], v[50:51], -v[40:41]
	v_fma_f64 v[64:65], -v[52:53], v[54:55], 1.0
	v_fmac_f64_e32 v[54:55], v[54:55], v[64:65]
	v_fma_f64 v[64:65], -v[52:53], v[54:55], 1.0
	v_fmac_f64_e32 v[54:55], v[54:55], v[64:65]
	v_mul_f64 v[64:65], v[56:57], v[54:55]
	v_fma_f64 v[52:53], -v[52:53], v[64:65], v[56:57]
	v_div_fmas_f64 v[52:53], v[52:53], v[54:55], v[64:65]
	v_div_fixup_f64 v[52:53], v[52:53], v[50:51], -v[40:41]
	v_fma_f64 v[54:55], v[52:53], v[52:53], 1.0
	v_cmp_gt_f64_e32 vcc, s[64:65], v[54:55]
	v_cndmask_b32_e64 v3, 0, 1, vcc
	v_lshlrev_b32_e32 v3, 8, v3
	v_ldexp_f64 v[54:55], v[54:55], v3
	v_rsq_f64_e32 v[56:57], v[54:55]
	v_cndmask_b32_e32 v3, 0, v60, vcc
	v_cmp_class_f64_e32 vcc, v[54:55], v59
	v_mul_f64 v[64:65], v[54:55], v[56:57]
	v_mul_f64 v[56:57], v[56:57], 0.5
	v_fma_f64 v[66:67], -v[56:57], v[64:65], 0.5
	v_fmac_f64_e32 v[64:65], v[64:65], v[66:67]
	v_fmac_f64_e32 v[56:57], v[56:57], v[66:67]
	v_fma_f64 v[66:67], -v[64:65], v[64:65], v[54:55]
	v_fmac_f64_e32 v[64:65], v[66:67], v[56:57]
	v_fma_f64 v[66:67], -v[64:65], v[64:65], v[54:55]
	v_fmac_f64_e32 v[64:65], v[66:67], v[56:57]
	v_ldexp_f64 v[56:57], v[64:65], v3
	v_cndmask_b32_e32 v55, v57, v55, vcc
	v_cndmask_b32_e32 v54, v56, v54, vcc
	v_div_scale_f64 v[56:57], s[42:43], v[54:55], v[54:55], 1.0
	v_rcp_f64_e32 v[64:65], v[56:57]
	v_fma_f64 v[66:67], -v[56:57], v[64:65], 1.0
	v_fmac_f64_e32 v[64:65], v[64:65], v[66:67]
	v_fma_f64 v[66:67], -v[56:57], v[64:65], 1.0
	v_fmac_f64_e32 v[64:65], v[64:65], v[66:67]
	v_div_scale_f64 v[66:67], vcc, 1.0, v[54:55], 1.0
	v_mul_f64 v[68:69], v[66:67], v[64:65]
	v_fma_f64 v[56:57], -v[56:57], v[68:69], v[66:67]
	s_nop 1
	v_div_fmas_f64 v[56:57], v[56:57], v[64:65], v[68:69]
	v_div_fixup_f64 v[56:57], v[56:57], v[54:55], 1.0
	v_mul_f64 v[54:55], v[52:53], v[56:57]
.LBB68_86:                              ;   in Loop: Header=BB68_80 Depth=3
	s_or_b64 exec, exec, s[90:91]
	v_mul_f64 v[50:51], v[50:51], v[56:57]
	v_fma_f64 v[40:41], v[40:41], v[54:55], -v[50:51]
                                        ; implicit-def: $vgpr50_vgpr51
.LBB68_87:                              ;   in Loop: Header=BB68_80 Depth=3
	s_andn2_saveexec_b64 s[88:89], s[88:89]
; %bb.88:                               ;   in Loop: Header=BB68_80 Depth=3
	v_xor_b32_e32 v51, 0x80000000, v51
	v_mov_b32_e32 v56, 0
	v_mov_b32_e32 v57, 0x3ff00000
	v_pk_mov_b32 v[54:55], 0, 0
	v_pk_mov_b32 v[40:41], v[50:51], v[50:51] op_sel:[0,1]
; %bb.89:                               ;   in Loop: Header=BB68_80 Depth=3
	s_or_b64 exec, exec, s[88:89]
.LBB68_90:                              ;   in Loop: Header=BB68_80 Depth=3
	s_or_b64 exec, exec, s[86:87]
	s_cmp_eq_u32 s17, 0
	s_cbranch_scc1 .LBB68_79
; %bb.91:                               ;   in Loop: Header=BB68_80 Depth=3
	global_store_dwordx2 v[48:49], v[40:41], off offset:8
	s_branch .LBB68_79
.LBB68_92:                              ;   in Loop: Header=BB68_53 Depth=2
	s_or_b64 exec, exec, s[76:77]
	s_mov_b32 s86, 0x667f3bcd
	s_mov_b32 s87, 0x3ff6a09e
	ds_write_b64 v8, v[42:43]
.LBB68_93:                              ;   in Loop: Header=BB68_53 Depth=2
	s_or_b64 exec, exec, s[8:9]
	global_load_dwordx2 v[44:45], v[36:37], off
.LBB68_94:                              ;   in Loop: Header=BB68_53 Depth=2
	s_or_b64 exec, exec, s[74:75]
	s_waitcnt vmcnt(0)
	v_add_f64 v[2:3], v[44:45], -v[42:43]
	global_store_dwordx2 v[36:37], v[2:3], off
	global_store_dwordx2 v[4:5], v[40:41], off
                                        ; implicit-def: $vgpr38_vgpr39
                                        ; implicit-def: $vgpr36_vgpr37
                                        ; implicit-def: $vgpr34
                                        ; implicit-def: $vgpr44_vgpr45
.LBB68_95:                              ;   in Loop: Header=BB68_53 Depth=2
	s_andn2_saveexec_b64 s[72:73], s[72:73]
	s_cbranch_execz .LBB68_128
; %bb.96:                               ;   in Loop: Header=BB68_53 Depth=2
	v_mov_b32_e32 v2, s92
	v_add_co_u32_e32 v40, vcc, s14, v38
	v_addc_co_u32_e32 v41, vcc, v2, v39, vcc
	global_load_dwordx2 v[2:3], v[36:37], off offset:8
	global_load_dwordx2 v[48:49], v[40:41], off
                                        ; implicit-def: $vgpr50_vgpr51
	s_waitcnt vmcnt(1)
	v_add_f64 v[46:47], v[44:45], -v[2:3]
	s_waitcnt vmcnt(0)
	v_add_f64 v[42:43], v[48:49], v[48:49]
	v_cmp_ngt_f64_e64 s[8:9], |v[46:47]|, |v[42:43]|
	s_and_saveexec_b64 s[74:75], s[8:9]
	s_xor_b64 s[8:9], exec, s[74:75]
	s_cbranch_execz .LBB68_102
; %bb.97:                               ;   in Loop: Header=BB68_53 Depth=2
	v_cmp_nlt_f64_e64 s[74:75], |v[46:47]|, |v[42:43]|
                                        ; implicit-def: $vgpr50_vgpr51
	s_and_saveexec_b64 s[76:77], s[74:75]
	s_xor_b64 s[74:75], exec, s[76:77]
; %bb.98:                               ;   in Loop: Header=BB68_53 Depth=2
	v_mul_f64 v[50:51], |v[42:43]|, s[86:87]
; %bb.99:                               ;   in Loop: Header=BB68_53 Depth=2
	s_andn2_saveexec_b64 s[74:75], s[74:75]
	s_cbranch_execz .LBB68_101
; %bb.100:                              ;   in Loop: Header=BB68_53 Depth=2
	v_and_b32_e32 v5, 0x7fffffff, v47
	v_mov_b32_e32 v4, v46
	v_and_b32_e32 v51, 0x7fffffff, v43
	v_mov_b32_e32 v50, v42
	v_div_scale_f64 v[52:53], s[76:77], v[50:51], v[50:51], v[4:5]
	v_rcp_f64_e32 v[54:55], v[52:53]
	v_div_scale_f64 v[4:5], vcc, v[4:5], v[50:51], v[4:5]
	v_fma_f64 v[56:57], -v[52:53], v[54:55], 1.0
	v_fmac_f64_e32 v[54:55], v[54:55], v[56:57]
	v_fma_f64 v[56:57], -v[52:53], v[54:55], 1.0
	v_fmac_f64_e32 v[54:55], v[54:55], v[56:57]
	v_mul_f64 v[50:51], v[4:5], v[54:55]
	v_fma_f64 v[4:5], -v[52:53], v[50:51], v[4:5]
	v_div_fmas_f64 v[4:5], v[4:5], v[54:55], v[50:51]
	v_div_fixup_f64 v[4:5], v[4:5], |v[42:43]|, |v[46:47]|
	v_fma_f64 v[4:5], v[4:5], v[4:5], 1.0
	v_cmp_gt_f64_e32 vcc, s[64:65], v[4:5]
	v_cndmask_b32_e64 v9, 0, 1, vcc
	v_lshlrev_b32_e32 v9, 8, v9
	v_ldexp_f64 v[4:5], v[4:5], v9
	v_rsq_f64_e32 v[50:51], v[4:5]
	v_cndmask_b32_e32 v9, 0, v60, vcc
	v_cmp_class_f64_e32 vcc, v[4:5], v59
	v_mul_f64 v[52:53], v[4:5], v[50:51]
	v_mul_f64 v[50:51], v[50:51], 0.5
	v_fma_f64 v[54:55], -v[50:51], v[52:53], 0.5
	v_fmac_f64_e32 v[52:53], v[52:53], v[54:55]
	v_fma_f64 v[56:57], -v[52:53], v[52:53], v[4:5]
	v_fmac_f64_e32 v[50:51], v[50:51], v[54:55]
	v_fmac_f64_e32 v[52:53], v[56:57], v[50:51]
	v_fma_f64 v[54:55], -v[52:53], v[52:53], v[4:5]
	v_fmac_f64_e32 v[52:53], v[54:55], v[50:51]
	v_ldexp_f64 v[50:51], v[52:53], v9
	v_cndmask_b32_e32 v5, v51, v5, vcc
	v_cndmask_b32_e32 v4, v50, v4, vcc
	v_mul_f64 v[50:51], |v[42:43]|, v[4:5]
.LBB68_101:                             ;   in Loop: Header=BB68_53 Depth=2
	s_or_b64 exec, exec, s[74:75]
.LBB68_102:                             ;   in Loop: Header=BB68_53 Depth=2
	s_andn2_saveexec_b64 s[8:9], s[8:9]
	s_cbranch_execz .LBB68_104
; %bb.103:                              ;   in Loop: Header=BB68_53 Depth=2
	v_and_b32_e32 v5, 0x7fffffff, v43
	v_mov_b32_e32 v4, v42
	v_and_b32_e32 v51, 0x7fffffff, v47
	v_mov_b32_e32 v50, v46
	v_div_scale_f64 v[52:53], s[74:75], v[50:51], v[50:51], v[4:5]
	v_rcp_f64_e32 v[54:55], v[52:53]
	v_div_scale_f64 v[4:5], vcc, v[4:5], v[50:51], v[4:5]
	v_fma_f64 v[56:57], -v[52:53], v[54:55], 1.0
	v_fmac_f64_e32 v[54:55], v[54:55], v[56:57]
	v_fma_f64 v[56:57], -v[52:53], v[54:55], 1.0
	v_fmac_f64_e32 v[54:55], v[54:55], v[56:57]
	v_mul_f64 v[50:51], v[4:5], v[54:55]
	v_fma_f64 v[4:5], -v[52:53], v[50:51], v[4:5]
	v_div_fmas_f64 v[4:5], v[4:5], v[54:55], v[50:51]
	v_div_fixup_f64 v[4:5], v[4:5], |v[46:47]|, |v[42:43]|
	v_fma_f64 v[4:5], v[4:5], v[4:5], 1.0
	v_cmp_gt_f64_e32 vcc, s[64:65], v[4:5]
	v_cndmask_b32_e64 v9, 0, 1, vcc
	v_lshlrev_b32_e32 v9, 8, v9
	v_ldexp_f64 v[4:5], v[4:5], v9
	v_rsq_f64_e32 v[50:51], v[4:5]
	v_cndmask_b32_e32 v9, 0, v60, vcc
	v_cmp_class_f64_e32 vcc, v[4:5], v59
	v_mul_f64 v[52:53], v[4:5], v[50:51]
	v_mul_f64 v[50:51], v[50:51], 0.5
	v_fma_f64 v[54:55], -v[50:51], v[52:53], 0.5
	v_fmac_f64_e32 v[52:53], v[52:53], v[54:55]
	v_fma_f64 v[56:57], -v[52:53], v[52:53], v[4:5]
	v_fmac_f64_e32 v[50:51], v[50:51], v[54:55]
	v_fmac_f64_e32 v[52:53], v[56:57], v[50:51]
	v_fma_f64 v[54:55], -v[52:53], v[52:53], v[4:5]
	v_fmac_f64_e32 v[52:53], v[54:55], v[50:51]
	v_ldexp_f64 v[50:51], v[52:53], v9
	v_cndmask_b32_e32 v5, v51, v5, vcc
	v_cndmask_b32_e32 v4, v50, v4, vcc
	v_mul_f64 v[50:51], |v[46:47]|, v[4:5]
.LBB68_104:                             ;   in Loop: Header=BB68_53 Depth=2
	s_or_b64 exec, exec, s[8:9]
	v_add_f64 v[54:55], v[44:45], v[2:3]
	v_cmp_gt_f64_e64 vcc, |v[44:45]|, |v[2:3]|
	v_cndmask_b32_e32 v53, v45, v3, vcc
	v_cndmask_b32_e32 v52, v44, v2, vcc
	;; [unrolled: 1-line block ×4, first 2 shown]
	v_cmp_ngt_f64_e32 vcc, 0, v[54:55]
                                        ; implicit-def: $vgpr9
                                        ; implicit-def: $vgpr4_vgpr5
	s_and_saveexec_b64 s[8:9], vcc
	s_xor_b64 s[8:9], exec, s[8:9]
	s_cbranch_execz .LBB68_110
; %bb.105:                              ;   in Loop: Header=BB68_53 Depth=2
	v_cmp_nlt_f64_e32 vcc, 0, v[54:55]
                                        ; implicit-def: $sgpr17
                                        ; implicit-def: $vgpr4_vgpr5
	s_and_saveexec_b64 s[74:75], vcc
	s_xor_b64 s[74:75], exec, s[74:75]
; %bb.106:                              ;   in Loop: Header=BB68_53 Depth=2
	v_mul_f64 v[2:3], v[50:51], 0.5
	v_mul_f64 v[4:5], v[50:51], -0.5
	s_mov_b32 s17, 1
                                        ; implicit-def: $vgpr54_vgpr55
                                        ; implicit-def: $vgpr44_vgpr45
                                        ; implicit-def: $vgpr48_vgpr49
                                        ; implicit-def: $vgpr52_vgpr53
; %bb.107:                              ;   in Loop: Header=BB68_53 Depth=2
	s_or_saveexec_b64 s[74:75], s[74:75]
	v_mov_b32_e32 v9, s17
	s_xor_b64 exec, exec, s[74:75]
	s_cbranch_execz .LBB68_109
; %bb.108:                              ;   in Loop: Header=BB68_53 Depth=2
	v_add_f64 v[2:3], v[54:55], v[50:51]
	v_mul_f64 v[2:3], v[2:3], 0.5
	v_div_scale_f64 v[4:5], s[76:77], v[2:3], v[2:3], v[44:45]
	v_rcp_f64_e32 v[54:55], v[4:5]
	v_div_scale_f64 v[56:57], vcc, v[44:45], v[2:3], v[44:45]
	v_mov_b32_e32 v9, 1
	v_fma_f64 v[64:65], -v[4:5], v[54:55], 1.0
	v_fmac_f64_e32 v[54:55], v[54:55], v[64:65]
	v_fma_f64 v[64:65], -v[4:5], v[54:55], 1.0
	v_fmac_f64_e32 v[54:55], v[54:55], v[64:65]
	v_mul_f64 v[64:65], v[56:57], v[54:55]
	v_fma_f64 v[4:5], -v[4:5], v[64:65], v[56:57]
	v_div_scale_f64 v[56:57], s[76:77], v[2:3], v[2:3], v[48:49]
	v_rcp_f64_e32 v[66:67], v[56:57]
	v_div_fmas_f64 v[4:5], v[4:5], v[54:55], v[64:65]
	v_div_fixup_f64 v[4:5], v[4:5], v[2:3], v[44:45]
	v_fma_f64 v[44:45], -v[56:57], v[66:67], 1.0
	v_fmac_f64_e32 v[66:67], v[66:67], v[44:45]
	v_fma_f64 v[44:45], -v[56:57], v[66:67], 1.0
	v_fmac_f64_e32 v[66:67], v[66:67], v[44:45]
	v_div_scale_f64 v[44:45], vcc, v[48:49], v[2:3], v[48:49]
	v_mul_f64 v[54:55], v[44:45], v[66:67]
	v_fma_f64 v[44:45], -v[56:57], v[54:55], v[44:45]
	s_nop 1
	v_div_fmas_f64 v[44:45], v[44:45], v[66:67], v[54:55]
	v_div_fixup_f64 v[44:45], v[44:45], v[2:3], v[48:49]
	v_mul_f64 v[44:45], v[48:49], v[44:45]
	v_fma_f64 v[4:5], v[52:53], v[4:5], -v[44:45]
.LBB68_109:                             ;   in Loop: Header=BB68_53 Depth=2
	s_or_b64 exec, exec, s[74:75]
                                        ; implicit-def: $vgpr54_vgpr55
                                        ; implicit-def: $vgpr44_vgpr45
                                        ; implicit-def: $vgpr48_vgpr49
                                        ; implicit-def: $vgpr52_vgpr53
.LBB68_110:                             ;   in Loop: Header=BB68_53 Depth=2
	s_andn2_saveexec_b64 s[8:9], s[8:9]
	s_cbranch_execz .LBB68_112
; %bb.111:                              ;   in Loop: Header=BB68_53 Depth=2
	v_add_f64 v[2:3], v[54:55], -v[50:51]
	v_mul_f64 v[2:3], v[2:3], 0.5
	v_div_scale_f64 v[4:5], s[74:75], v[2:3], v[2:3], v[44:45]
	v_rcp_f64_e32 v[54:55], v[4:5]
	v_div_scale_f64 v[56:57], vcc, v[44:45], v[2:3], v[44:45]
	v_mov_b32_e32 v9, -1
	v_fma_f64 v[64:65], -v[4:5], v[54:55], 1.0
	v_fmac_f64_e32 v[54:55], v[54:55], v[64:65]
	v_fma_f64 v[64:65], -v[4:5], v[54:55], 1.0
	v_fmac_f64_e32 v[54:55], v[54:55], v[64:65]
	v_mul_f64 v[64:65], v[56:57], v[54:55]
	v_fma_f64 v[4:5], -v[4:5], v[64:65], v[56:57]
	v_div_scale_f64 v[56:57], s[74:75], v[2:3], v[2:3], v[48:49]
	v_rcp_f64_e32 v[66:67], v[56:57]
	v_div_fmas_f64 v[4:5], v[4:5], v[54:55], v[64:65]
	v_div_fixup_f64 v[4:5], v[4:5], v[2:3], v[44:45]
	v_fma_f64 v[44:45], -v[56:57], v[66:67], 1.0
	v_fmac_f64_e32 v[66:67], v[66:67], v[44:45]
	v_fma_f64 v[44:45], -v[56:57], v[66:67], 1.0
	v_fmac_f64_e32 v[66:67], v[66:67], v[44:45]
	v_div_scale_f64 v[44:45], vcc, v[48:49], v[2:3], v[48:49]
	v_mul_f64 v[54:55], v[44:45], v[66:67]
	v_fma_f64 v[44:45], -v[56:57], v[54:55], v[44:45]
	s_nop 1
	v_div_fmas_f64 v[44:45], v[44:45], v[66:67], v[54:55]
	v_div_fixup_f64 v[44:45], v[44:45], v[2:3], v[48:49]
	v_mul_f64 v[44:45], v[48:49], v[44:45]
	v_fma_f64 v[4:5], v[52:53], v[4:5], -v[44:45]
.LBB68_112:                             ;   in Loop: Header=BB68_53 Depth=2
	s_or_b64 exec, exec, s[8:9]
	v_xor_b32_e32 v27, 0x80000000, v51
	v_cmp_nle_f64_e64 s[8:9], 0, v[46:47]
	v_cndmask_b32_e64 v45, v51, v27, s[8:9]
	v_cndmask_b32_e64 v44, v50, v50, s[8:9]
	v_add_f64 v[44:45], v[46:47], v[44:45]
	v_cmp_ngt_f64_e64 s[74:75], |v[44:45]|, |v[42:43]|
                                        ; implicit-def: $vgpr46_vgpr47
                                        ; implicit-def: $vgpr48_vgpr49
	s_and_saveexec_b64 s[76:77], s[74:75]
	s_xor_b64 s[74:75], exec, s[76:77]
	s_cbranch_execz .LBB68_116
; %bb.113:                              ;   in Loop: Header=BB68_53 Depth=2
	v_mov_b32_e32 v46, 0
	v_cmp_neq_f64_e32 vcc, 0, v[42:43]
	v_mov_b32_e32 v47, 0x3ff00000
	v_pk_mov_b32 v[48:49], 0, 0
	s_and_saveexec_b64 s[76:77], vcc
	s_cbranch_execz .LBB68_115
; %bb.114:                              ;   in Loop: Header=BB68_53 Depth=2
	v_div_scale_f64 v[46:47], s[78:79], v[42:43], v[42:43], -v[44:45]
	v_rcp_f64_e32 v[48:49], v[46:47]
	v_div_scale_f64 v[50:51], vcc, -v[44:45], v[42:43], -v[44:45]
	v_fma_f64 v[52:53], -v[46:47], v[48:49], 1.0
	v_fmac_f64_e32 v[48:49], v[48:49], v[52:53]
	v_fma_f64 v[52:53], -v[46:47], v[48:49], 1.0
	v_fmac_f64_e32 v[48:49], v[48:49], v[52:53]
	v_mul_f64 v[52:53], v[50:51], v[48:49]
	v_fma_f64 v[46:47], -v[46:47], v[52:53], v[50:51]
	v_div_fmas_f64 v[46:47], v[46:47], v[48:49], v[52:53]
	v_div_fixup_f64 v[42:43], v[46:47], v[42:43], -v[44:45]
	v_fma_f64 v[44:45], v[42:43], v[42:43], 1.0
	v_cmp_gt_f64_e32 vcc, s[64:65], v[44:45]
	v_cndmask_b32_e64 v27, 0, 1, vcc
	v_lshlrev_b32_e32 v27, 8, v27
	v_ldexp_f64 v[44:45], v[44:45], v27
	v_rsq_f64_e32 v[46:47], v[44:45]
	v_cndmask_b32_e32 v27, 0, v60, vcc
	v_cmp_class_f64_e32 vcc, v[44:45], v59
	v_mul_f64 v[48:49], v[44:45], v[46:47]
	v_mul_f64 v[46:47], v[46:47], 0.5
	v_fma_f64 v[50:51], -v[46:47], v[48:49], 0.5
	v_fmac_f64_e32 v[48:49], v[48:49], v[50:51]
	v_fma_f64 v[52:53], -v[48:49], v[48:49], v[44:45]
	v_fmac_f64_e32 v[46:47], v[46:47], v[50:51]
	v_fmac_f64_e32 v[48:49], v[52:53], v[46:47]
	v_fma_f64 v[50:51], -v[48:49], v[48:49], v[44:45]
	v_fmac_f64_e32 v[48:49], v[50:51], v[46:47]
	v_ldexp_f64 v[46:47], v[48:49], v27
	v_cndmask_b32_e32 v45, v47, v45, vcc
	v_cndmask_b32_e32 v44, v46, v44, vcc
	v_div_scale_f64 v[46:47], s[78:79], v[44:45], v[44:45], 1.0
	v_rcp_f64_e32 v[48:49], v[46:47]
	v_fma_f64 v[50:51], -v[46:47], v[48:49], 1.0
	v_fmac_f64_e32 v[48:49], v[48:49], v[50:51]
	v_fma_f64 v[50:51], -v[46:47], v[48:49], 1.0
	v_fmac_f64_e32 v[48:49], v[48:49], v[50:51]
	v_div_scale_f64 v[50:51], vcc, 1.0, v[44:45], 1.0
	v_mul_f64 v[52:53], v[50:51], v[48:49]
	v_fma_f64 v[46:47], -v[46:47], v[52:53], v[50:51]
	s_nop 1
	v_div_fmas_f64 v[46:47], v[46:47], v[48:49], v[52:53]
	v_div_fixup_f64 v[46:47], v[46:47], v[44:45], 1.0
	v_mul_f64 v[48:49], v[42:43], v[46:47]
.LBB68_115:                             ;   in Loop: Header=BB68_53 Depth=2
	s_or_b64 exec, exec, s[76:77]
                                        ; implicit-def: $vgpr44_vgpr45
                                        ; implicit-def: $vgpr42_vgpr43
.LBB68_116:                             ;   in Loop: Header=BB68_53 Depth=2
	s_andn2_saveexec_b64 s[74:75], s[74:75]
	s_cbranch_execz .LBB68_118
; %bb.117:                              ;   in Loop: Header=BB68_53 Depth=2
	v_div_scale_f64 v[46:47], s[76:77], v[44:45], v[44:45], -v[42:43]
	v_rcp_f64_e32 v[48:49], v[46:47]
	v_div_scale_f64 v[50:51], vcc, -v[42:43], v[44:45], -v[42:43]
	v_fma_f64 v[52:53], -v[46:47], v[48:49], 1.0
	v_fmac_f64_e32 v[48:49], v[48:49], v[52:53]
	v_fma_f64 v[52:53], -v[46:47], v[48:49], 1.0
	v_fmac_f64_e32 v[48:49], v[48:49], v[52:53]
	v_mul_f64 v[52:53], v[50:51], v[48:49]
	v_fma_f64 v[46:47], -v[46:47], v[52:53], v[50:51]
	v_div_fmas_f64 v[46:47], v[46:47], v[48:49], v[52:53]
	v_div_fixup_f64 v[42:43], v[46:47], v[44:45], -v[42:43]
	v_fma_f64 v[44:45], v[42:43], v[42:43], 1.0
	v_cmp_gt_f64_e32 vcc, s[64:65], v[44:45]
	v_cndmask_b32_e64 v27, 0, 1, vcc
	v_lshlrev_b32_e32 v27, 8, v27
	v_ldexp_f64 v[44:45], v[44:45], v27
	v_rsq_f64_e32 v[46:47], v[44:45]
	v_cndmask_b32_e32 v27, 0, v60, vcc
	v_cmp_class_f64_e32 vcc, v[44:45], v59
	v_mul_f64 v[48:49], v[44:45], v[46:47]
	v_mul_f64 v[46:47], v[46:47], 0.5
	v_fma_f64 v[50:51], -v[46:47], v[48:49], 0.5
	v_fmac_f64_e32 v[48:49], v[48:49], v[50:51]
	v_fma_f64 v[52:53], -v[48:49], v[48:49], v[44:45]
	v_fmac_f64_e32 v[46:47], v[46:47], v[50:51]
	v_fmac_f64_e32 v[48:49], v[52:53], v[46:47]
	v_fma_f64 v[50:51], -v[48:49], v[48:49], v[44:45]
	v_fmac_f64_e32 v[48:49], v[50:51], v[46:47]
	v_ldexp_f64 v[46:47], v[48:49], v27
	v_cndmask_b32_e32 v45, v47, v45, vcc
	v_cndmask_b32_e32 v44, v46, v44, vcc
	v_div_scale_f64 v[46:47], s[76:77], v[44:45], v[44:45], 1.0
	v_rcp_f64_e32 v[48:49], v[46:47]
	v_fma_f64 v[50:51], -v[46:47], v[48:49], 1.0
	v_fmac_f64_e32 v[48:49], v[48:49], v[50:51]
	v_fma_f64 v[50:51], -v[46:47], v[48:49], 1.0
	v_fmac_f64_e32 v[48:49], v[48:49], v[50:51]
	v_div_scale_f64 v[50:51], vcc, 1.0, v[44:45], 1.0
	v_mul_f64 v[52:53], v[50:51], v[48:49]
	v_fma_f64 v[46:47], -v[46:47], v[52:53], v[50:51]
	s_nop 1
	v_div_fmas_f64 v[46:47], v[46:47], v[48:49], v[52:53]
	v_div_fixup_f64 v[48:49], v[46:47], v[44:45], 1.0
	v_mul_f64 v[46:47], v[42:43], v[48:49]
.LBB68_118:                             ;   in Loop: Header=BB68_53 Depth=2
	s_or_b64 exec, exec, s[74:75]
	v_cndmask_b32_e64 v27, 1, -1, s[8:9]
	v_xor_b32_e32 v35, 0x80000000, v49
	v_cmp_eq_u32_e32 vcc, v9, v27
	v_cndmask_b32_e32 v43, v49, v47, vcc
	v_cndmask_b32_e32 v42, v48, v46, vcc
	;; [unrolled: 1-line block ×4, first 2 shown]
	v_mov_b32_e32 v9, s66
	v_add_co_u32_e32 v38, vcc, s95, v38
	v_addc_co_u32_e32 v39, vcc, v9, v39, vcc
	global_store_dwordx2 v[38:39], v[44:45], off
	v_mov_b32_e32 v9, s55
	v_add_co_u32_e32 v38, vcc, s54, v38
	v_addc_co_u32_e32 v39, vcc, v39, v9, vcc
	global_store_dwordx2 v[38:39], v[42:43], off offset:-8
	global_store_dwordx4 v[36:37], v[2:5], off
	v_mov_b32_e32 v9, v8
	v_add_u32_e32 v2, 2, v34
	global_store_dwordx2 v[40:41], v[8:9], off
	ds_write_b32 v8, v2 offset:16
	s_or_b64 exec, exec, s[72:73]
                                        ; implicit-def: $vgpr3
.LBB68_119:                             ;   in Loop: Header=BB68_53 Depth=2
	s_andn2_saveexec_b64 s[8:9], s[70:71]
	s_cbranch_execz .LBB68_121
.LBB68_120:                             ;   in Loop: Header=BB68_53 Depth=2
	ds_write_b32 v8, v3 offset:16
.LBB68_121:                             ;   in Loop: Header=BB68_53 Depth=2
	s_or_b64 exec, exec, s[8:9]
.LBB68_122:                             ;   in Loop: Header=BB68_53 Depth=2
	s_or_b64 exec, exec, s[68:69]
	s_waitcnt lgkmcnt(0)
	s_barrier
	ds_read_b64 v[2:3], v8 offset:16
	s_waitcnt lgkmcnt(0)
	v_readfirstlane_b32 s8, v3
	v_cmp_eq_u32_e32 vcc, s8, v2
	v_mov_b32_e32 v34, s8
	s_cbranch_vccnz .LBB68_52
; %bb.123:                              ;   in Loop: Header=BB68_53 Depth=2
	s_and_saveexec_b64 s[68:69], s[2:3]
	s_cbranch_execz .LBB68_51
; %bb.124:                              ;   in Loop: Header=BB68_53 Depth=2
	ds_read_b32 v2, v8 offset:28
	s_mov_b64 s[72:73], 0
	v_mov_b32_e32 v38, v6
	s_waitcnt lgkmcnt(0)
	v_readfirstlane_b32 s9, v2
	s_mul_i32 s42, s9, s15
	s_ashr_i32 s43, s42, 31
	s_lshl_b64 s[42:43], s[42:43], 4
	s_add_u32 s17, s93, s42
	s_addc_u32 s41, s94, s43
	s_sub_i32 s74, s8, s9
	s_mul_hi_i32 s9, s74, s46
	s_mul_i32 s8, s74, s46
	s_lshl_b64 s[8:9], s[8:9], 4
	s_add_u32 s75, s17, s8
	s_addc_u32 s76, s41, s9
	s_cmp_gt_i32 s74, 0
	v_ashrrev_i32_e32 v3, 31, v2
	s_cselect_b64 s[70:71], -1, 0
	s_add_i32 s62, s74, -1
	v_lshlrev_b64 v[2:3], 3, v[2:3]
	s_lshl_b64 s[8:9], s[62:63], 3
	v_mov_b32_e32 v4, s9
	v_add_co_u32_e32 v2, vcc, s8, v2
	s_mul_i32 s8, s59, s62
	s_mul_hi_u32 s9, s58, s62
	v_addc_co_u32_e32 v3, vcc, v3, v4, vcc
	s_add_i32 s9, s9, s8
	s_mul_i32 s8, s58, s62
	v_mov_b32_e32 v4, s66
	v_add_co_u32_e32 v34, vcc, s95, v2
	s_add_u32 s8, s8, s42
	v_addc_co_u32_e32 v35, vcc, v4, v3, vcc
	s_addc_u32 s9, s9, s43
	v_mov_b32_e32 v2, s9
	v_add_co_u32_e32 v36, vcc, s8, v7
	v_addc_co_u32_e32 v37, vcc, v58, v2, vcc
	s_branch .LBB68_126
.LBB68_125:                             ;   in Loop: Header=BB68_126 Depth=3
	v_add_u32_e32 v38, s36, v38
	v_cmp_le_i32_e32 vcc, s10, v38
	s_waitcnt vmcnt(0)
	global_store_dwordx4 v[40:41], v[2:5], off
	s_or_b64 s[72:73], vcc, s[72:73]
	v_mov_b32_e32 v2, s61
	v_add_co_u32_e32 v36, vcc, s60, v36
	v_addc_co_u32_e32 v37, vcc, v37, v2, vcc
	s_andn2_b64 exec, exec, s[72:73]
	s_cbranch_execz .LBB68_51
.LBB68_126:                             ;   Parent Loop BB68_7 Depth=1
                                        ;     Parent Loop BB68_53 Depth=2
                                        ; =>    This Loop Header: Depth=3
                                        ;         Child Loop BB68_127 Depth 4
	v_ashrrev_i32_e32 v39, 31, v38
	v_lshlrev_b64 v[40:41], 4, v[38:39]
	v_mov_b32_e32 v3, s76
	v_add_co_u32_e32 v2, vcc, s75, v40
	v_addc_co_u32_e32 v3, vcc, v3, v41, vcc
	global_load_dwordx4 v[2:5], v[2:3], off
	v_mov_b32_e32 v9, s41
	v_add_co_u32_e32 v40, vcc, s17, v40
	v_addc_co_u32_e32 v41, vcc, v9, v41, vcc
	s_andn2_b64 vcc, exec, s[70:71]
	v_pk_mov_b32 v[42:43], v[36:37], v[36:37] op_sel:[0,1]
	v_pk_mov_b32 v[44:45], v[34:35], v[34:35] op_sel:[0,1]
	s_mov_b32 s8, s74
	s_cbranch_vccnz .LBB68_125
.LBB68_127:                             ;   Parent Loop BB68_7 Depth=1
                                        ;     Parent Loop BB68_53 Depth=2
                                        ;       Parent Loop BB68_126 Depth=3
                                        ; =>      This Inner Loop Header: Depth=4
	v_mov_b32_e32 v9, s27
	v_add_co_u32_e32 v50, vcc, s11, v44
	v_addc_co_u32_e32 v51, vcc, v45, v9, vcc
	global_load_dwordx4 v[46:49], v[42:43], off offset:-8
	s_nop 0
	global_load_dwordx2 v[50:51], v[50:51], off
	s_nop 0
	global_load_dwordx2 v[52:53], v[44:45], off
	s_mul_i32 s43, s8, s47
	s_mul_hi_u32 s77, s8, s46
	s_waitcnt vmcnt(3)
	v_pk_mov_b32 v[56:57], v[2:3], v[2:3] op_sel:[0,1]
	s_mul_i32 s42, s8, s46
	v_mov_b32_e32 v2, s56
	v_add_co_u32_e32 v42, vcc, s37, v42
	s_add_i32 s43, s77, s43
	v_addc_co_u32_e32 v43, vcc, v43, v2, vcc
	s_lshl_b64 s[42:43], s[42:43], 4
	s_add_i32 s62, s8, -1
	v_add_co_u32_e64 v44, s[8:9], -8, v44
	v_mov_b32_e32 v2, s43
	v_add_co_u32_e32 v64, vcc, s42, v40
	v_pk_mov_b32 v[54:55], v[4:5], v[4:5] op_sel:[0,1]
	v_addc_co_u32_e64 v45, s[8:9], -1, v45, s[8:9]
	v_addc_co_u32_e32 v65, vcc, v41, v2, vcc
	s_mov_b32 s8, s62
	s_cmp_eq_u32 s62, 0
	s_waitcnt vmcnt(0)
	v_mul_f64 v[2:3], v[52:53], v[46:47]
	v_mul_f64 v[4:5], v[52:53], v[48:49]
	;; [unrolled: 1-line block ×4, first 2 shown]
	v_fmac_f64_e32 v[2:3], v[56:57], v[50:51]
	v_fmac_f64_e32 v[4:5], v[54:55], v[50:51]
	v_fma_f64 v[46:47], v[56:57], v[52:53], -v[46:47]
	v_fma_f64 v[48:49], v[54:55], v[52:53], -v[48:49]
	global_store_dwordx4 v[64:65], v[46:49], off
	s_cbranch_scc0 .LBB68_127
	s_branch .LBB68_125
.LBB68_128:                             ;   in Loop: Header=BB68_53 Depth=2
	s_or_b64 exec, exec, s[72:73]
                                        ; implicit-def: $vgpr3
	s_andn2_saveexec_b64 s[8:9], s[70:71]
	s_cbranch_execnz .LBB68_120
	s_branch .LBB68_121
.LBB68_129:                             ;   in Loop: Header=BB68_7 Depth=1
	v_pk_mov_b32 v[32:33], v[24:25], v[24:25] op_sel:[0,1]
	v_pk_mov_b32 v[30:31], v[22:23], v[22:23] op_sel:[0,1]
	v_mov_b32_e32 v63, v62
	s_branch .LBB68_6
.LBB68_130:                             ;   in Loop: Header=BB68_7 Depth=1
                                        ; implicit-def: $vgpr32_vgpr33
                                        ; implicit-def: $vgpr30_vgpr31
                                        ; implicit-def: $vgpr63
.LBB68_131:                             ;   in Loop: Header=BB68_7 Depth=1
	s_and_b64 vcc, exec, s[6:7]
	s_cbranch_vccz .LBB68_148
.LBB68_132:                             ;   in Loop: Header=BB68_7 Depth=1
	v_mov_b32_e32 v63, v62
	v_pk_mov_b32 v[30:31], v[22:23], v[22:23] op_sel:[0,1]
	v_pk_mov_b32 v[32:33], v[24:25], v[24:25] op_sel:[0,1]
.LBB68_133:                             ;   in Loop: Header=BB68_7 Depth=1
	s_barrier
	ds_read_b64 v[2:3], v8 offset:8
	s_waitcnt lgkmcnt(0)
	v_cmp_nlt_f64_e32 vcc, s[44:45], v[2:3]
	s_cbranch_vccnz .LBB68_140
; %bb.134:                              ;   in Loop: Header=BB68_7 Depth=1
	v_div_scale_f64 v[22:23], s[6:7], v[2:3], v[2:3], s[44:45]
	v_rcp_f64_e32 v[24:25], v[22:23]
	ds_read2_b32 v[4:5], v8 offset0:7 offset1:10
	v_fma_f64 v[26:27], -v[22:23], v[24:25], 1.0
	v_fmac_f64_e32 v[24:25], v[24:25], v[26:27]
	v_fma_f64 v[26:27], -v[22:23], v[24:25], 1.0
	v_fmac_f64_e32 v[24:25], v[24:25], v[26:27]
	v_div_scale_f64 v[26:27], vcc, s[44:45], v[2:3], s[44:45]
	v_mul_f64 v[28:29], v[26:27], v[24:25]
	v_fma_f64 v[22:23], -v[22:23], v[28:29], v[26:27]
	s_nop 1
	v_div_fmas_f64 v[22:23], v[22:23], v[24:25], v[28:29]
	v_div_fixup_f64 v[22:23], v[22:23], v[2:3], s[44:45]
	s_and_saveexec_b64 s[6:7], s[0:1]
	s_cbranch_execz .LBB68_136
; %bb.135:                              ;   in Loop: Header=BB68_7 Depth=1
	s_waitcnt lgkmcnt(0)
	v_ashrrev_i32_e32 v25, 31, v5
	v_mov_b32_e32 v24, v5
	v_lshlrev_b64 v[24:25], 3, v[24:25]
	v_mov_b32_e32 v9, s23
	v_add_co_u32_e32 v24, vcc, s22, v24
	v_addc_co_u32_e32 v25, vcc, v9, v25, vcc
	global_load_dwordx2 v[26:27], v[24:25], off
	s_waitcnt vmcnt(0)
	v_mul_f64 v[26:27], v[22:23], v[26:27]
	global_store_dwordx2 v[24:25], v[26:27], off
.LBB68_136:                             ;   in Loop: Header=BB68_7 Depth=1
	s_or_b64 exec, exec, s[6:7]
	s_waitcnt lgkmcnt(0)
	v_add_u32_e32 v24, v4, v6
	v_cmp_lt_i32_e32 vcc, v24, v5
	s_and_saveexec_b64 s[6:7], vcc
	s_cbranch_execz .LBB68_139
; %bb.137:                              ;   in Loop: Header=BB68_7 Depth=1
	v_ashrrev_i32_e32 v25, 31, v24
	v_lshlrev_b64 v[26:27], 3, v[24:25]
	s_mov_b64 s[8:9], 0
.LBB68_138:                             ;   Parent Loop BB68_7 Depth=1
                                        ; =>  This Inner Loop Header: Depth=2
	v_mov_b32_e32 v4, s23
	v_add_co_u32_e32 v28, vcc, s22, v26
	v_addc_co_u32_e32 v29, vcc, v4, v27, vcc
	global_load_dwordx2 v[34:35], v[28:29], off
	v_mov_b32_e32 v4, s92
	v_add_co_u32_e32 v36, vcc, s14, v26
	v_addc_co_u32_e32 v37, vcc, v4, v27, vcc
	v_mov_b32_e32 v4, s53
	v_add_co_u32_e32 v26, vcc, s52, v26
	v_add_u32_e32 v24, s36, v24
	v_addc_co_u32_e32 v27, vcc, v27, v4, vcc
	v_cmp_ge_i32_e32 vcc, v24, v5
	s_or_b64 s[8:9], vcc, s[8:9]
	s_waitcnt vmcnt(0)
	v_mul_f64 v[34:35], v[22:23], v[34:35]
	global_store_dwordx2 v[28:29], v[34:35], off
	global_load_dwordx2 v[28:29], v[36:37], off
	s_waitcnt vmcnt(0)
	v_mul_f64 v[28:29], v[22:23], v[28:29]
	global_store_dwordx2 v[36:37], v[28:29], off
	s_andn2_b64 exec, exec, s[8:9]
	s_cbranch_execnz .LBB68_138
.LBB68_139:                             ;   in Loop: Header=BB68_7 Depth=1
	s_or_b64 exec, exec, s[6:7]
.LBB68_140:                             ;   in Loop: Header=BB68_7 Depth=1
	v_cmp_ngt_f64_e32 vcc, s[30:31], v[2:3]
	s_cbranch_vccnz .LBB68_5
; %bb.141:                              ;   in Loop: Header=BB68_7 Depth=1
	v_div_scale_f64 v[22:23], s[6:7], v[2:3], v[2:3], s[30:31]
	v_rcp_f64_e32 v[24:25], v[22:23]
	ds_read2_b32 v[4:5], v8 offset0:7 offset1:10
	v_fma_f64 v[26:27], -v[22:23], v[24:25], 1.0
	v_fmac_f64_e32 v[24:25], v[24:25], v[26:27]
	v_fma_f64 v[26:27], -v[22:23], v[24:25], 1.0
	v_fmac_f64_e32 v[24:25], v[24:25], v[26:27]
	v_div_scale_f64 v[26:27], vcc, s[30:31], v[2:3], s[30:31]
	v_mul_f64 v[28:29], v[26:27], v[24:25]
	v_fma_f64 v[22:23], -v[22:23], v[28:29], v[26:27]
	s_nop 1
	v_div_fmas_f64 v[22:23], v[22:23], v[24:25], v[28:29]
	v_div_fixup_f64 v[2:3], v[22:23], v[2:3], s[30:31]
	s_and_saveexec_b64 s[6:7], s[0:1]
	s_cbranch_execz .LBB68_143
; %bb.142:                              ;   in Loop: Header=BB68_7 Depth=1
	s_waitcnt lgkmcnt(0)
	v_ashrrev_i32_e32 v23, 31, v5
	v_mov_b32_e32 v22, v5
	v_lshlrev_b64 v[22:23], 3, v[22:23]
	v_mov_b32_e32 v9, s23
	v_add_co_u32_e32 v22, vcc, s22, v22
	v_addc_co_u32_e32 v23, vcc, v9, v23, vcc
	global_load_dwordx2 v[24:25], v[22:23], off
	s_waitcnt vmcnt(0)
	v_mul_f64 v[24:25], v[2:3], v[24:25]
	global_store_dwordx2 v[22:23], v[24:25], off
.LBB68_143:                             ;   in Loop: Header=BB68_7 Depth=1
	s_or_b64 exec, exec, s[6:7]
	s_waitcnt lgkmcnt(0)
	v_add_u32_e32 v22, v4, v6
	v_cmp_lt_i32_e32 vcc, v22, v5
	s_and_saveexec_b64 s[6:7], vcc
	s_cbranch_execz .LBB68_4
; %bb.144:                              ;   in Loop: Header=BB68_7 Depth=1
	v_ashrrev_i32_e32 v23, 31, v22
	v_lshlrev_b64 v[24:25], 3, v[22:23]
	s_mov_b64 s[8:9], 0
.LBB68_145:                             ;   Parent Loop BB68_7 Depth=1
                                        ; =>  This Inner Loop Header: Depth=2
	v_mov_b32_e32 v4, s23
	v_add_co_u32_e32 v26, vcc, s22, v24
	v_addc_co_u32_e32 v27, vcc, v4, v25, vcc
	global_load_dwordx2 v[28:29], v[26:27], off
	v_mov_b32_e32 v4, s92
	v_add_co_u32_e32 v34, vcc, s14, v24
	v_addc_co_u32_e32 v35, vcc, v4, v25, vcc
	v_mov_b32_e32 v4, s53
	v_add_co_u32_e32 v24, vcc, s52, v24
	v_add_u32_e32 v22, s36, v22
	v_addc_co_u32_e32 v25, vcc, v25, v4, vcc
	v_cmp_ge_i32_e32 vcc, v22, v5
	s_or_b64 s[8:9], vcc, s[8:9]
	s_waitcnt vmcnt(0)
	v_mul_f64 v[28:29], v[2:3], v[28:29]
	global_store_dwordx2 v[26:27], v[28:29], off
	global_load_dwordx2 v[26:27], v[34:35], off
	s_waitcnt vmcnt(0)
	v_mul_f64 v[26:27], v[2:3], v[26:27]
	global_store_dwordx2 v[34:35], v[26:27], off
	s_andn2_b64 exec, exec, s[8:9]
	s_cbranch_execnz .LBB68_145
	s_branch .LBB68_4
.LBB68_146:                             ;   in Loop: Header=BB68_148 Depth=2
	s_or_b64 exec, exec, s[6:7]
	s_barrier
	ds_read_b32 v26, v8 offset:16
.LBB68_147:                             ;   in Loop: Header=BB68_148 Depth=2
	ds_read_b64 v[28:29], v8 offset:32
	s_waitcnt lgkmcnt(0)
	v_cmp_ge_i32_e32 vcc, v26, v28
	v_cmp_gt_i32_e64 s[6:7], s33, v29
	s_and_b64 s[6:7], vcc, s[6:7]
	s_andn2_b64 vcc, exec, s[6:7]
	s_cbranch_vccnz .LBB68_132
.LBB68_148:                             ;   Parent Loop BB68_7 Depth=1
                                        ; =>  This Loop Header: Depth=2
                                        ;       Child Loop BB68_156 Depth 3
                                        ;       Child Loop BB68_175 Depth 3
	;; [unrolled: 1-line block ×3, first 2 shown]
                                        ;         Child Loop BB68_222 Depth 4
	s_and_saveexec_b64 s[8:9], s[0:1]
	s_cbranch_execz .LBB68_217
; %bb.149:                              ;   in Loop: Header=BB68_148 Depth=2
	v_cmp_gt_i32_e32 vcc, v26, v28
	s_mov_b64 s[6:7], 0
	s_cbranch_vccnz .LBB68_153
; %bb.150:                              ;   in Loop: Header=BB68_148 Depth=2
	v_ashrrev_i32_e32 v27, 31, v26
	s_mov_b64 s[68:69], -1
	v_pk_mov_b32 v[4:5], v[26:27], v[26:27] op_sel:[0,1]
	v_mov_b32_e32 v2, v26
	s_cbranch_execz .LBB68_154
; %bb.151:                              ;   in Loop: Header=BB68_148 Depth=2
	s_and_b64 vcc, exec, s[68:69]
	s_cbranch_vccz .LBB68_159
.LBB68_152:                             ;   in Loop: Header=BB68_148 Depth=2
	ds_write2_b32 v8, v2, v26 offset0:5 offset1:7
	s_cbranch_execz .LBB68_160
	s_branch .LBB68_161
.LBB68_153:                             ;   in Loop: Header=BB68_148 Depth=2
                                        ; implicit-def: $vgpr4_vgpr5
	s_mov_b64 s[68:69], 0
	v_mov_b32_e32 v2, v26
.LBB68_154:                             ;   in Loop: Header=BB68_148 Depth=2
	v_ashrrev_i32_e32 v27, 31, v26
	v_lshlrev_b64 v[4:5], 3, v[26:27]
	v_mov_b32_e32 v3, s16
	v_add_co_u32_e32 v2, vcc, s57, v4
	v_addc_co_u32_e32 v3, vcc, v3, v5, vcc
	v_mov_b32_e32 v9, s92
	v_add_co_u32_e32 v4, vcc, s14, v4
	v_addc_co_u32_e32 v5, vcc, v9, v5, vcc
	v_mov_b32_e32 v9, v26
	s_branch .LBB68_156
.LBB68_155:                             ;   in Loop: Header=BB68_156 Depth=3
	v_add_u32_e32 v9, -1, v61
	v_add_co_u32_e32 v2, vcc, -8, v2
	v_addc_co_u32_e32 v3, vcc, -1, v3, vcc
	s_mov_b64 s[6:7], 0
	v_cmp_le_i32_e64 s[68:69], v9, v28
	s_andn2_b64 vcc, exec, s[68:69]
	v_pk_mov_b32 v[4:5], v[12:13], v[12:13] op_sel:[0,1]
	s_cbranch_vccz .LBB68_158
.LBB68_156:                             ;   Parent Loop BB68_7 Depth=1
                                        ;     Parent Loop BB68_148 Depth=2
                                        ; =>    This Inner Loop Header: Depth=3
	global_load_dwordx2 v[14:15], v[4:5], off offset:-8
	global_load_dwordx4 v[30:33], v[2:3], off
	v_add_co_u32_e32 v12, vcc, -8, v4
	v_addc_co_u32_e32 v13, vcc, -1, v5, vcc
	v_mov_b32_e32 v61, v9
	s_waitcnt vmcnt(1)
	v_mul_f64 v[4:5], v[14:15], v[14:15]
	s_waitcnt vmcnt(0)
	v_mul_f64 v[14:15], v[32:33], v[30:31]
	v_mul_f64 v[14:15], v[10:11], |v[14:15]|
	v_cmp_le_f64_e64 s[6:7], |v[4:5]|, v[14:15]
	s_and_b64 vcc, exec, s[6:7]
	s_cbranch_vccz .LBB68_155
; %bb.157:                              ;   in Loop: Header=BB68_148 Depth=2
	s_mov_b64 s[6:7], -1
                                        ; implicit-def: $vgpr9
                                        ; implicit-def: $vgpr2_vgpr3
	v_pk_mov_b32 v[4:5], v[12:13], v[12:13] op_sel:[0,1]
.LBB68_158:                             ;   in Loop: Header=BB68_148 Depth=2
	s_xor_b64 s[68:69], s[6:7], -1
	s_mov_b64 s[6:7], -1
	v_pk_mov_b32 v[14:15], v[26:27], v[26:27] op_sel:[0,1]
	v_mov_b32_e32 v2, v28
	v_pk_mov_b32 v[4:5], v[26:27], v[26:27] op_sel:[0,1]
	s_and_b64 vcc, exec, s[68:69]
	s_cbranch_vccnz .LBB68_152
.LBB68_159:                             ;   in Loop: Header=BB68_148 Depth=2
                                        ; implicit-def: $vgpr2
                                        ; implicit-def: $vgpr4_vgpr5
	s_andn2_b64 vcc, exec, s[6:7]
	s_cbranch_vccnz .LBB68_161
.LBB68_160:                             ;   in Loop: Header=BB68_148 Depth=2
	v_mov_b32_e32 v9, v8
	v_pk_mov_b32 v[4:5], v[14:15], v[14:15] op_sel:[0,1]
	v_mov_b32_e32 v2, v61
	ds_write2_b32 v8, v61, v26 offset0:5 offset1:7
	global_store_dwordx2 v[12:13], v[8:9], off
.LBB68_161:                             ;   in Loop: Header=BB68_148 Depth=2
	v_lshlrev_b64 v[32:33], 3, v[4:5]
	v_mov_b32_e32 v3, s23
	v_add_co_u32_e32 v30, vcc, s22, v32
	v_addc_co_u32_e32 v31, vcc, v3, v33, vcc
	global_load_dwordx2 v[36:37], v[30:31], off
	v_cmp_ne_u32_e32 vcc, v2, v26
	v_add_u32_e32 v3, -1, v26
	s_waitcnt vmcnt(0)
	ds_write_b64 v8, v[36:37]
	s_and_saveexec_b64 s[6:7], vcc
	s_xor_b64 s[68:69], exec, s[6:7]
	s_cbranch_execz .LBB68_214
; %bb.162:                              ;   in Loop: Header=BB68_148 Depth=2
	v_cmp_ne_u32_e32 vcc, v2, v3
	s_and_saveexec_b64 s[6:7], vcc
	s_xor_b64 s[70:71], exec, s[6:7]
	s_cbranch_execz .LBB68_190
; %bb.163:                              ;   in Loop: Header=BB68_148 Depth=2
	v_mov_b32_e32 v3, s49
	v_add_co_u32_e32 v4, vcc, s48, v32
	v_addc_co_u32_e32 v5, vcc, v3, v33, vcc
	global_load_dwordx2 v[34:35], v[30:31], off offset:-8
	global_load_dwordx2 v[32:33], v[4:5], off
	v_ashrrev_i32_e32 v3, 31, v2
	v_lshlrev_b64 v[42:43], 3, v[2:3]
	v_mov_b32_e32 v9, s23
	v_add_co_u32_e32 v38, vcc, s22, v42
	v_addc_co_u32_e32 v39, vcc, v9, v43, vcc
	global_load_dwordx2 v[40:41], v[38:39], off
	v_add_u32_e32 v3, 1, v29
	v_mov_b32_e32 v9, v8
	ds_write_b32 v8, v3 offset:36
	ds_write_b64 v8, v[8:9]
	v_mov_b32_e32 v28, 0
	v_mov_b32_e32 v29, 0x3ff00000
	s_waitcnt vmcnt(2)
	v_add_f64 v[34:35], v[34:35], -v[36:37]
	s_waitcnt vmcnt(1)
	v_add_f64 v[44:45], v[32:33], v[32:33]
	v_div_scale_f64 v[46:47], s[6:7], v[44:45], v[44:45], v[34:35]
	v_rcp_f64_e32 v[48:49], v[46:47]
	v_div_scale_f64 v[50:51], vcc, v[34:35], v[44:45], v[34:35]
	v_cmp_lt_i32_e64 s[6:7], v2, v26
	v_fma_f64 v[52:53], -v[46:47], v[48:49], 1.0
	v_fmac_f64_e32 v[48:49], v[48:49], v[52:53]
	v_fma_f64 v[52:53], -v[46:47], v[48:49], 1.0
	v_fmac_f64_e32 v[48:49], v[48:49], v[52:53]
	v_mul_f64 v[52:53], v[50:51], v[48:49]
	v_fma_f64 v[46:47], -v[46:47], v[52:53], v[50:51]
	v_div_fmas_f64 v[46:47], v[46:47], v[48:49], v[52:53]
	v_div_fixup_f64 v[34:35], v[46:47], v[44:45], v[34:35]
	v_fma_f64 v[44:45], v[34:35], v[34:35], 1.0
	v_cmp_gt_f64_e32 vcc, s[64:65], v[44:45]
	v_cndmask_b32_e64 v27, 0, 1, vcc
	v_lshlrev_b32_e32 v27, 8, v27
	v_ldexp_f64 v[44:45], v[44:45], v27
	v_rsq_f64_e32 v[46:47], v[44:45]
	v_cndmask_b32_e32 v3, 0, v60, vcc
	v_cmp_class_f64_e32 vcc, v[44:45], v59
	v_mul_f64 v[48:49], v[44:45], v[46:47]
	v_mul_f64 v[46:47], v[46:47], 0.5
	v_fma_f64 v[50:51], -v[46:47], v[48:49], 0.5
	v_fmac_f64_e32 v[48:49], v[48:49], v[50:51]
	v_fmac_f64_e32 v[46:47], v[46:47], v[50:51]
	v_fma_f64 v[50:51], -v[48:49], v[48:49], v[44:45]
	v_fmac_f64_e32 v[48:49], v[50:51], v[46:47]
	v_fma_f64 v[50:51], -v[48:49], v[48:49], v[44:45]
	v_fmac_f64_e32 v[48:49], v[50:51], v[46:47]
	v_ldexp_f64 v[46:47], v[48:49], v3
	v_cndmask_b32_e32 v3, v47, v45, vcc
	v_cndmask_b32_e32 v44, v46, v44, vcc
	v_and_b32_e32 v9, 0x7fffffff, v3
	v_or_b32_e32 v3, 0x80000000, v3
	v_cmp_nle_f64_e32 vcc, 0, v[34:35]
	v_cndmask_b32_e32 v45, v9, v3, vcc
	v_add_f64 v[34:35], v[34:35], v[44:45]
	v_div_scale_f64 v[44:45], s[42:43], v[34:35], v[34:35], v[32:33]
	v_rcp_f64_e32 v[46:47], v[44:45]
	v_div_scale_f64 v[50:51], vcc, v[32:33], v[34:35], v[32:33]
	s_waitcnt vmcnt(0)
	v_add_f64 v[48:49], v[40:41], -v[36:37]
	v_fma_f64 v[52:53], -v[44:45], v[46:47], 1.0
	v_fmac_f64_e32 v[46:47], v[46:47], v[52:53]
	v_fma_f64 v[52:53], -v[44:45], v[46:47], 1.0
	v_fmac_f64_e32 v[46:47], v[46:47], v[52:53]
	v_mul_f64 v[52:53], v[50:51], v[46:47]
	v_fma_f64 v[44:45], -v[44:45], v[52:53], v[50:51]
	v_div_fmas_f64 v[44:45], v[44:45], v[46:47], v[52:53]
	v_div_fixup_f64 v[32:33], v[44:45], v[34:35], v[32:33]
	v_add_f64 v[32:33], v[48:49], v[32:33]
	v_pk_mov_b32 v[34:35], 0, 0
	s_and_saveexec_b64 s[72:73], s[6:7]
	s_cbranch_execz .LBB68_189
; %bb.164:                              ;   in Loop: Header=BB68_148 Depth=2
	v_mov_b32_e32 v3, s92
	v_add_co_u32_e32 v34, vcc, s14, v42
	v_addc_co_u32_e32 v35, vcc, v3, v43, vcc
	global_load_dwordx2 v[36:37], v[34:35], off
	v_pk_mov_b32 v[46:47], 0, 0
	s_waitcnt vmcnt(0)
	v_cmp_neq_f64_e32 vcc, 0, v[36:37]
	s_and_saveexec_b64 s[6:7], vcc
	s_cbranch_execz .LBB68_172
; %bb.165:                              ;   in Loop: Header=BB68_148 Depth=2
	v_mov_b32_e32 v46, 0
	v_cmp_neq_f64_e32 vcc, 0, v[32:33]
	v_mov_b32_e32 v47, 0x3ff00000
	v_pk_mov_b32 v[28:29], 0, 0
	s_and_saveexec_b64 s[74:75], vcc
	s_cbranch_execz .LBB68_171
; %bb.166:                              ;   in Loop: Header=BB68_148 Depth=2
	v_cmp_ngt_f64_e64 s[42:43], |v[36:37]|, |v[32:33]|
                                        ; implicit-def: $vgpr46_vgpr47
                                        ; implicit-def: $vgpr28_vgpr29
	s_and_saveexec_b64 s[76:77], s[42:43]
	s_xor_b64 s[76:77], exec, s[76:77]
	s_cbranch_execz .LBB68_168
; %bb.167:                              ;   in Loop: Header=BB68_148 Depth=2
	v_div_scale_f64 v[28:29], s[42:43], v[32:33], v[32:33], -v[36:37]
	v_rcp_f64_e32 v[34:35], v[28:29]
	v_div_scale_f64 v[44:45], vcc, -v[36:37], v[32:33], -v[36:37]
	v_fma_f64 v[46:47], -v[28:29], v[34:35], 1.0
	v_fmac_f64_e32 v[34:35], v[34:35], v[46:47]
	v_fma_f64 v[46:47], -v[28:29], v[34:35], 1.0
	v_fmac_f64_e32 v[34:35], v[34:35], v[46:47]
	v_mul_f64 v[46:47], v[44:45], v[34:35]
	v_fma_f64 v[28:29], -v[28:29], v[46:47], v[44:45]
	v_div_fmas_f64 v[28:29], v[28:29], v[34:35], v[46:47]
	v_div_fixup_f64 v[32:33], v[28:29], v[32:33], -v[36:37]
	v_fma_f64 v[28:29], v[32:33], v[32:33], 1.0
	v_cmp_gt_f64_e32 vcc, s[64:65], v[28:29]
	v_cndmask_b32_e64 v3, 0, 1, vcc
	v_lshlrev_b32_e32 v3, 8, v3
	v_ldexp_f64 v[28:29], v[28:29], v3
	v_rsq_f64_e32 v[34:35], v[28:29]
	v_cndmask_b32_e32 v3, 0, v60, vcc
	v_cmp_class_f64_e32 vcc, v[28:29], v59
	v_mul_f64 v[44:45], v[28:29], v[34:35]
	v_mul_f64 v[34:35], v[34:35], 0.5
	v_fma_f64 v[46:47], -v[34:35], v[44:45], 0.5
	v_fmac_f64_e32 v[44:45], v[44:45], v[46:47]
	v_fma_f64 v[48:49], -v[44:45], v[44:45], v[28:29]
	v_fmac_f64_e32 v[34:35], v[34:35], v[46:47]
	v_fmac_f64_e32 v[44:45], v[48:49], v[34:35]
	v_fma_f64 v[46:47], -v[44:45], v[44:45], v[28:29]
	v_fmac_f64_e32 v[44:45], v[46:47], v[34:35]
	v_ldexp_f64 v[34:35], v[44:45], v3
	v_cndmask_b32_e32 v29, v35, v29, vcc
	v_cndmask_b32_e32 v28, v34, v28, vcc
	v_div_scale_f64 v[34:35], s[42:43], v[28:29], v[28:29], 1.0
	v_rcp_f64_e32 v[44:45], v[34:35]
	v_fma_f64 v[46:47], -v[34:35], v[44:45], 1.0
	v_fmac_f64_e32 v[44:45], v[44:45], v[46:47]
	v_fma_f64 v[46:47], -v[34:35], v[44:45], 1.0
	v_fmac_f64_e32 v[44:45], v[44:45], v[46:47]
	v_div_scale_f64 v[46:47], vcc, 1.0, v[28:29], 1.0
	v_mul_f64 v[48:49], v[46:47], v[44:45]
	v_fma_f64 v[34:35], -v[34:35], v[48:49], v[46:47]
	s_nop 1
	v_div_fmas_f64 v[34:35], v[34:35], v[44:45], v[48:49]
	v_div_fixup_f64 v[28:29], v[34:35], v[28:29], 1.0
	v_mul_f64 v[46:47], v[32:33], v[28:29]
                                        ; implicit-def: $vgpr32_vgpr33
.LBB68_168:                             ;   in Loop: Header=BB68_148 Depth=2
	s_andn2_saveexec_b64 s[76:77], s[76:77]
	s_cbranch_execz .LBB68_170
; %bb.169:                              ;   in Loop: Header=BB68_148 Depth=2
	v_div_scale_f64 v[28:29], s[42:43], v[36:37], v[36:37], -v[32:33]
	v_rcp_f64_e32 v[34:35], v[28:29]
	v_div_scale_f64 v[44:45], vcc, -v[32:33], v[36:37], -v[32:33]
	v_fma_f64 v[46:47], -v[28:29], v[34:35], 1.0
	v_fmac_f64_e32 v[34:35], v[34:35], v[46:47]
	v_fma_f64 v[46:47], -v[28:29], v[34:35], 1.0
	v_fmac_f64_e32 v[34:35], v[34:35], v[46:47]
	v_mul_f64 v[46:47], v[44:45], v[34:35]
	v_fma_f64 v[28:29], -v[28:29], v[46:47], v[44:45]
	v_div_fmas_f64 v[28:29], v[28:29], v[34:35], v[46:47]
	v_div_fixup_f64 v[28:29], v[28:29], v[36:37], -v[32:33]
	v_fma_f64 v[32:33], v[28:29], v[28:29], 1.0
	v_cmp_gt_f64_e32 vcc, s[64:65], v[32:33]
	v_cndmask_b32_e64 v3, 0, 1, vcc
	v_lshlrev_b32_e32 v3, 8, v3
	v_ldexp_f64 v[32:33], v[32:33], v3
	v_rsq_f64_e32 v[34:35], v[32:33]
	v_cndmask_b32_e32 v3, 0, v60, vcc
	v_cmp_class_f64_e32 vcc, v[32:33], v59
	v_mul_f64 v[44:45], v[32:33], v[34:35]
	v_mul_f64 v[34:35], v[34:35], 0.5
	v_fma_f64 v[46:47], -v[34:35], v[44:45], 0.5
	v_fmac_f64_e32 v[44:45], v[44:45], v[46:47]
	v_fma_f64 v[48:49], -v[44:45], v[44:45], v[32:33]
	v_fmac_f64_e32 v[34:35], v[34:35], v[46:47]
	v_fmac_f64_e32 v[44:45], v[48:49], v[34:35]
	v_fma_f64 v[46:47], -v[44:45], v[44:45], v[32:33]
	v_fmac_f64_e32 v[44:45], v[46:47], v[34:35]
	v_ldexp_f64 v[34:35], v[44:45], v3
	v_cndmask_b32_e32 v33, v35, v33, vcc
	v_cndmask_b32_e32 v32, v34, v32, vcc
	v_div_scale_f64 v[34:35], s[42:43], v[32:33], v[32:33], 1.0
	v_rcp_f64_e32 v[44:45], v[34:35]
	v_fma_f64 v[46:47], -v[34:35], v[44:45], 1.0
	v_fmac_f64_e32 v[44:45], v[44:45], v[46:47]
	v_fma_f64 v[46:47], -v[34:35], v[44:45], 1.0
	v_fmac_f64_e32 v[44:45], v[44:45], v[46:47]
	v_div_scale_f64 v[46:47], vcc, 1.0, v[32:33], 1.0
	v_mul_f64 v[48:49], v[46:47], v[44:45]
	v_fma_f64 v[34:35], -v[34:35], v[48:49], v[46:47]
	s_nop 1
	v_div_fmas_f64 v[34:35], v[34:35], v[44:45], v[48:49]
	v_div_fixup_f64 v[46:47], v[34:35], v[32:33], 1.0
	v_mul_f64 v[28:29], v[28:29], v[46:47]
.LBB68_170:                             ;   in Loop: Header=BB68_148 Depth=2
	s_or_b64 exec, exec, s[76:77]
.LBB68_171:                             ;   in Loop: Header=BB68_148 Depth=2
	s_or_b64 exec, exec, s[74:75]
.LBB68_172:                             ;   in Loop: Header=BB68_148 Depth=2
	s_or_b64 exec, exec, s[6:7]
	global_load_dwordx2 v[32:33], v[38:39], off offset:8
	v_mov_b32_e32 v3, s66
	v_add_co_u32_e32 v42, vcc, s95, v42
	v_addc_co_u32_e32 v43, vcc, v3, v43, vcc
	v_add_f64 v[34:35], v[28:29], v[28:29]
	v_mov_b32_e32 v9, s55
	v_add_co_u32_e32 v50, vcc, s54, v42
	v_add_u32_e32 v48, 1, v2
	v_addc_co_u32_e32 v51, vcc, v43, v9, vcc
	v_xor_b32_e32 v45, 0x80000000, v47
	v_mov_b32_e32 v44, v46
	v_cmp_lt_i32_e32 vcc, v48, v26
	s_waitcnt vmcnt(0)
	v_add_f64 v[32:33], v[32:33], -v[40:41]
	v_mul_f64 v[32:33], v[46:47], v[32:33]
	v_fma_f64 v[32:33], v[36:37], v[34:35], -v[32:33]
	v_mul_f64 v[34:35], v[32:33], -v[46:47]
	v_fma_f64 v[40:41], v[32:33], -v[46:47], v[40:41]
	v_fma_f64 v[32:33], v[28:29], v[32:33], -v[36:37]
	ds_write_b64 v8, v[34:35]
	global_store_dwordx2 v[38:39], v[40:41], off
	global_store_dwordx2 v[42:43], v[28:29], off
	global_store_dwordx2 v[50:51], v[44:45], off offset:-8
	s_and_saveexec_b64 s[6:7], vcc
	s_cbranch_execz .LBB68_188
; %bb.173:                              ;   in Loop: Header=BB68_148 Depth=2
	v_ashrrev_i32_e32 v49, 31, v48
	v_lshlrev_b64 v[40:41], 3, v[48:49]
	v_mov_b32_e32 v3, s66
	v_add_co_u32_e32 v36, vcc, s95, v40
	v_addc_co_u32_e32 v37, vcc, v3, v41, vcc
	v_mov_b32_e32 v3, s49
	v_add_co_u32_e32 v38, vcc, s48, v40
	v_addc_co_u32_e32 v39, vcc, v3, v41, vcc
	;; [unrolled: 3-line block ×3, first 2 shown]
	s_mov_b32 s17, 1
	s_mov_b64 s[74:75], 0
	s_branch .LBB68_175
.LBB68_174:                             ;   in Loop: Header=BB68_175 Depth=3
	global_load_dwordx4 v[50:53], v[40:41], off
	v_add_co_u32_e32 v38, vcc, 8, v38
	v_addc_co_u32_e32 v39, vcc, 0, v39, vcc
	v_mul_f64 v[28:29], v[28:29], v[42:43]
	v_add_co_u32_e32 v42, vcc, 8, v40
	v_addc_co_u32_e32 v43, vcc, 0, v41, vcc
	v_add_f64 v[32:33], v[46:47], v[46:47]
	v_mov_b32_e32 v3, s27
	s_add_i32 s17, s17, 1
	v_add_co_u32_e32 v54, vcc, s11, v36
	v_addc_co_u32_e32 v55, vcc, v37, v3, vcc
	v_add_u32_e32 v3, s17, v2
	v_xor_b32_e32 v45, 0x80000000, v49
	v_mov_b32_e32 v44, v48
	v_cmp_ge_i32_e32 vcc, v3, v26
	s_or_b64 s[74:75], vcc, s[74:75]
	s_waitcnt vmcnt(0)
	v_add_f64 v[50:51], v[50:51], -v[34:35]
	v_add_f64 v[34:35], v[52:53], -v[50:51]
	v_mul_f64 v[34:35], v[48:49], v[34:35]
	v_fma_f64 v[32:33], v[28:29], v[32:33], -v[34:35]
	v_mul_f64 v[34:35], v[32:33], -v[48:49]
	v_fma_f64 v[48:49], v[32:33], -v[48:49], v[50:51]
	global_store_dwordx2 v[40:41], v[48:49], off
	global_store_dwordx2 v[36:37], v[46:47], off
	;; [unrolled: 1-line block ×3, first 2 shown]
	v_add_co_u32_e32 v36, vcc, 8, v36
	v_fma_f64 v[32:33], v[46:47], v[32:33], -v[28:29]
	v_addc_co_u32_e32 v37, vcc, 0, v37, vcc
	v_pk_mov_b32 v[40:41], v[42:43], v[42:43] op_sel:[0,1]
	v_pk_mov_b32 v[28:29], v[46:47], v[46:47] op_sel:[0,1]
	s_andn2_b64 exec, exec, s[74:75]
	s_cbranch_execz .LBB68_187
.LBB68_175:                             ;   Parent Loop BB68_7 Depth=1
                                        ;     Parent Loop BB68_148 Depth=2
                                        ; =>    This Inner Loop Header: Depth=3
	global_load_dwordx2 v[42:43], v[38:39], off offset:8
	v_mov_b32_e32 v46, 0
	v_mov_b32_e32 v47, 0x3ff00000
	v_pk_mov_b32 v[48:49], 0, 0
	s_waitcnt vmcnt(0)
	v_mul_f64 v[44:45], v[44:45], v[42:43]
	v_cmp_neq_f64_e32 vcc, 0, v[44:45]
	s_and_saveexec_b64 s[76:77], vcc
	s_cbranch_execz .LBB68_185
; %bb.176:                              ;   in Loop: Header=BB68_175 Depth=3
	v_cmp_neq_f64_e32 vcc, 0, v[32:33]
                                        ; implicit-def: $vgpr48_vgpr49
                                        ; implicit-def: $vgpr46_vgpr47
	s_and_saveexec_b64 s[42:43], vcc
	s_xor_b64 s[78:79], exec, s[42:43]
	s_cbranch_execz .LBB68_182
; %bb.177:                              ;   in Loop: Header=BB68_175 Depth=3
	v_cmp_ngt_f64_e64 s[42:43], |v[44:45]|, |v[32:33]|
                                        ; implicit-def: $vgpr48_vgpr49
                                        ; implicit-def: $vgpr46_vgpr47
	s_and_saveexec_b64 s[80:81], s[42:43]
	s_xor_b64 s[80:81], exec, s[80:81]
	s_cbranch_execz .LBB68_179
; %bb.178:                              ;   in Loop: Header=BB68_175 Depth=3
	v_div_scale_f64 v[46:47], s[42:43], v[32:33], v[32:33], -v[44:45]
	v_rcp_f64_e32 v[48:49], v[46:47]
	v_div_scale_f64 v[50:51], vcc, -v[44:45], v[32:33], -v[44:45]
	v_fma_f64 v[52:53], -v[46:47], v[48:49], 1.0
	v_fmac_f64_e32 v[48:49], v[48:49], v[52:53]
	v_fma_f64 v[52:53], -v[46:47], v[48:49], 1.0
	v_fmac_f64_e32 v[48:49], v[48:49], v[52:53]
	v_mul_f64 v[52:53], v[50:51], v[48:49]
	v_fma_f64 v[46:47], -v[46:47], v[52:53], v[50:51]
	v_div_fmas_f64 v[46:47], v[46:47], v[48:49], v[52:53]
	v_div_fixup_f64 v[48:49], v[46:47], v[32:33], -v[44:45]
	v_fma_f64 v[46:47], v[48:49], v[48:49], 1.0
	v_cmp_gt_f64_e32 vcc, s[64:65], v[46:47]
	v_cndmask_b32_e64 v3, 0, 1, vcc
	v_lshlrev_b32_e32 v3, 8, v3
	v_ldexp_f64 v[46:47], v[46:47], v3
	v_rsq_f64_e32 v[50:51], v[46:47]
	v_cndmask_b32_e32 v3, 0, v60, vcc
	v_cmp_class_f64_e32 vcc, v[46:47], v59
	v_mul_f64 v[52:53], v[46:47], v[50:51]
	v_mul_f64 v[50:51], v[50:51], 0.5
	v_fma_f64 v[54:55], -v[50:51], v[52:53], 0.5
	v_fmac_f64_e32 v[52:53], v[52:53], v[54:55]
	v_fma_f64 v[56:57], -v[52:53], v[52:53], v[46:47]
	v_fmac_f64_e32 v[50:51], v[50:51], v[54:55]
	v_fmac_f64_e32 v[52:53], v[56:57], v[50:51]
	v_fma_f64 v[54:55], -v[52:53], v[52:53], v[46:47]
	v_fmac_f64_e32 v[52:53], v[54:55], v[50:51]
	v_ldexp_f64 v[50:51], v[52:53], v3
	v_cndmask_b32_e32 v47, v51, v47, vcc
	v_cndmask_b32_e32 v46, v50, v46, vcc
	v_div_scale_f64 v[50:51], s[42:43], v[46:47], v[46:47], 1.0
	v_rcp_f64_e32 v[52:53], v[50:51]
	v_fma_f64 v[54:55], -v[50:51], v[52:53], 1.0
	v_fmac_f64_e32 v[52:53], v[52:53], v[54:55]
	v_fma_f64 v[54:55], -v[50:51], v[52:53], 1.0
	v_fmac_f64_e32 v[52:53], v[52:53], v[54:55]
	v_div_scale_f64 v[54:55], vcc, 1.0, v[46:47], 1.0
	v_mul_f64 v[56:57], v[54:55], v[52:53]
	v_fma_f64 v[50:51], -v[50:51], v[56:57], v[54:55]
	s_nop 1
	v_div_fmas_f64 v[50:51], v[50:51], v[52:53], v[56:57]
	v_div_fixup_f64 v[46:47], v[50:51], v[46:47], 1.0
	v_mul_f64 v[48:49], v[48:49], v[46:47]
.LBB68_179:                             ;   in Loop: Header=BB68_175 Depth=3
	s_andn2_saveexec_b64 s[80:81], s[80:81]
	s_cbranch_execz .LBB68_181
; %bb.180:                              ;   in Loop: Header=BB68_175 Depth=3
	v_div_scale_f64 v[46:47], s[42:43], v[44:45], v[44:45], -v[32:33]
	v_rcp_f64_e32 v[48:49], v[46:47]
	v_div_scale_f64 v[50:51], vcc, -v[32:33], v[44:45], -v[32:33]
	v_fma_f64 v[52:53], -v[46:47], v[48:49], 1.0
	v_fmac_f64_e32 v[48:49], v[48:49], v[52:53]
	v_fma_f64 v[52:53], -v[46:47], v[48:49], 1.0
	v_fmac_f64_e32 v[48:49], v[48:49], v[52:53]
	v_mul_f64 v[52:53], v[50:51], v[48:49]
	v_fma_f64 v[46:47], -v[46:47], v[52:53], v[50:51]
	v_div_fmas_f64 v[46:47], v[46:47], v[48:49], v[52:53]
	v_div_fixup_f64 v[46:47], v[46:47], v[44:45], -v[32:33]
	v_fma_f64 v[48:49], v[46:47], v[46:47], 1.0
	v_cmp_gt_f64_e32 vcc, s[64:65], v[48:49]
	v_cndmask_b32_e64 v3, 0, 1, vcc
	v_lshlrev_b32_e32 v3, 8, v3
	v_ldexp_f64 v[48:49], v[48:49], v3
	v_rsq_f64_e32 v[50:51], v[48:49]
	v_cndmask_b32_e32 v3, 0, v60, vcc
	v_cmp_class_f64_e32 vcc, v[48:49], v59
	v_mul_f64 v[52:53], v[48:49], v[50:51]
	v_mul_f64 v[50:51], v[50:51], 0.5
	v_fma_f64 v[54:55], -v[50:51], v[52:53], 0.5
	v_fmac_f64_e32 v[52:53], v[52:53], v[54:55]
	v_fma_f64 v[56:57], -v[52:53], v[52:53], v[48:49]
	v_fmac_f64_e32 v[50:51], v[50:51], v[54:55]
	v_fmac_f64_e32 v[52:53], v[56:57], v[50:51]
	v_fma_f64 v[54:55], -v[52:53], v[52:53], v[48:49]
	v_fmac_f64_e32 v[52:53], v[54:55], v[50:51]
	v_ldexp_f64 v[50:51], v[52:53], v3
	v_cndmask_b32_e32 v49, v51, v49, vcc
	v_cndmask_b32_e32 v48, v50, v48, vcc
	v_div_scale_f64 v[50:51], s[42:43], v[48:49], v[48:49], 1.0
	v_rcp_f64_e32 v[52:53], v[50:51]
	v_fma_f64 v[54:55], -v[50:51], v[52:53], 1.0
	v_fmac_f64_e32 v[52:53], v[52:53], v[54:55]
	v_fma_f64 v[54:55], -v[50:51], v[52:53], 1.0
	v_fmac_f64_e32 v[52:53], v[52:53], v[54:55]
	v_div_scale_f64 v[54:55], vcc, 1.0, v[48:49], 1.0
	v_mul_f64 v[56:57], v[54:55], v[52:53]
	v_fma_f64 v[50:51], -v[50:51], v[56:57], v[54:55]
	s_nop 1
	v_div_fmas_f64 v[50:51], v[50:51], v[52:53], v[56:57]
	v_div_fixup_f64 v[48:49], v[50:51], v[48:49], 1.0
	v_mul_f64 v[46:47], v[46:47], v[48:49]
.LBB68_181:                             ;   in Loop: Header=BB68_175 Depth=3
	s_or_b64 exec, exec, s[80:81]
	v_mul_f64 v[44:45], v[44:45], v[48:49]
	v_fma_f64 v[32:33], v[32:33], v[46:47], -v[44:45]
                                        ; implicit-def: $vgpr44_vgpr45
.LBB68_182:                             ;   in Loop: Header=BB68_175 Depth=3
	s_andn2_saveexec_b64 s[78:79], s[78:79]
; %bb.183:                              ;   in Loop: Header=BB68_175 Depth=3
	v_xor_b32_e32 v45, 0x80000000, v45
	v_mov_b32_e32 v48, 0
	v_mov_b32_e32 v49, 0x3ff00000
	v_pk_mov_b32 v[46:47], 0, 0
	v_pk_mov_b32 v[32:33], v[44:45], v[44:45] op_sel:[0,1]
; %bb.184:                              ;   in Loop: Header=BB68_175 Depth=3
	s_or_b64 exec, exec, s[78:79]
.LBB68_185:                             ;   in Loop: Header=BB68_175 Depth=3
	s_or_b64 exec, exec, s[76:77]
	s_cmp_eq_u32 s17, 0
	s_cbranch_scc1 .LBB68_174
; %bb.186:                              ;   in Loop: Header=BB68_175 Depth=3
	global_store_dwordx2 v[38:39], v[32:33], off
	s_branch .LBB68_174
.LBB68_187:                             ;   in Loop: Header=BB68_148 Depth=2
	s_or_b64 exec, exec, s[74:75]
	ds_write_b64 v8, v[34:35]
.LBB68_188:                             ;   in Loop: Header=BB68_148 Depth=2
	s_or_b64 exec, exec, s[6:7]
	global_load_dwordx2 v[36:37], v[30:31], off
.LBB68_189:                             ;   in Loop: Header=BB68_148 Depth=2
	s_or_b64 exec, exec, s[72:73]
	s_waitcnt vmcnt(0)
	v_add_f64 v[2:3], v[36:37], -v[34:35]
	global_store_dwordx2 v[30:31], v[2:3], off
	global_store_dwordx2 v[4:5], v[32:33], off
                                        ; implicit-def: $vgpr30_vgpr31
                                        ; implicit-def: $vgpr32_vgpr33
                                        ; implicit-def: $vgpr26
                                        ; implicit-def: $vgpr36_vgpr37
                                        ; implicit-def: $vgpr2
.LBB68_190:                             ;   in Loop: Header=BB68_148 Depth=2
	s_andn2_saveexec_b64 s[70:71], s[70:71]
	s_cbranch_execz .LBB68_223
; %bb.191:                              ;   in Loop: Header=BB68_148 Depth=2
	v_ashrrev_i32_e32 v3, 31, v2
	v_lshlrev_b64 v[28:29], 3, v[2:3]
	v_mov_b32_e32 v3, s23
	v_add_co_u32_e32 v2, vcc, s22, v28
	v_addc_co_u32_e32 v3, vcc, v3, v29, vcc
	v_mov_b32_e32 v5, s92
	v_add_co_u32_e32 v4, vcc, s14, v28
	v_addc_co_u32_e32 v5, vcc, v5, v29, vcc
	global_load_dwordx2 v[2:3], v[2:3], off
	s_nop 0
	global_load_dwordx2 v[40:41], v[4:5], off
                                        ; implicit-def: $vgpr42_vgpr43
	s_waitcnt vmcnt(1)
	v_add_f64 v[38:39], v[2:3], -v[36:37]
	s_waitcnt vmcnt(0)
	v_add_f64 v[34:35], v[40:41], v[40:41]
	v_cmp_ngt_f64_e64 s[6:7], |v[38:39]|, |v[34:35]|
	s_and_saveexec_b64 s[42:43], s[6:7]
	s_xor_b64 s[6:7], exec, s[42:43]
	s_cbranch_execz .LBB68_197
; %bb.192:                              ;   in Loop: Header=BB68_148 Depth=2
	v_cmp_nlt_f64_e64 s[42:43], |v[38:39]|, |v[34:35]|
                                        ; implicit-def: $vgpr42_vgpr43
	s_and_saveexec_b64 s[72:73], s[42:43]
	s_xor_b64 s[72:73], exec, s[72:73]
; %bb.193:                              ;   in Loop: Header=BB68_148 Depth=2
	v_mul_f64 v[42:43], |v[34:35]|, s[86:87]
; %bb.194:                              ;   in Loop: Header=BB68_148 Depth=2
	s_andn2_saveexec_b64 s[72:73], s[72:73]
	s_cbranch_execz .LBB68_196
; %bb.195:                              ;   in Loop: Header=BB68_148 Depth=2
	v_and_b32_e32 v5, 0x7fffffff, v39
	v_mov_b32_e32 v4, v38
	v_and_b32_e32 v43, 0x7fffffff, v35
	v_mov_b32_e32 v42, v34
	v_div_scale_f64 v[44:45], s[42:43], v[42:43], v[42:43], v[4:5]
	v_rcp_f64_e32 v[46:47], v[44:45]
	v_div_scale_f64 v[4:5], vcc, v[4:5], v[42:43], v[4:5]
	v_fma_f64 v[48:49], -v[44:45], v[46:47], 1.0
	v_fmac_f64_e32 v[46:47], v[46:47], v[48:49]
	v_fma_f64 v[48:49], -v[44:45], v[46:47], 1.0
	v_fmac_f64_e32 v[46:47], v[46:47], v[48:49]
	v_mul_f64 v[42:43], v[4:5], v[46:47]
	v_fma_f64 v[4:5], -v[44:45], v[42:43], v[4:5]
	v_div_fmas_f64 v[4:5], v[4:5], v[46:47], v[42:43]
	v_div_fixup_f64 v[4:5], v[4:5], |v[34:35]|, |v[38:39]|
	v_fma_f64 v[4:5], v[4:5], v[4:5], 1.0
	v_cmp_gt_f64_e32 vcc, s[64:65], v[4:5]
	v_cndmask_b32_e64 v9, 0, 1, vcc
	v_lshlrev_b32_e32 v9, 8, v9
	v_ldexp_f64 v[4:5], v[4:5], v9
	v_rsq_f64_e32 v[42:43], v[4:5]
	v_cndmask_b32_e32 v9, 0, v60, vcc
	v_cmp_class_f64_e32 vcc, v[4:5], v59
	v_mul_f64 v[44:45], v[4:5], v[42:43]
	v_mul_f64 v[42:43], v[42:43], 0.5
	v_fma_f64 v[46:47], -v[42:43], v[44:45], 0.5
	v_fmac_f64_e32 v[44:45], v[44:45], v[46:47]
	v_fma_f64 v[48:49], -v[44:45], v[44:45], v[4:5]
	v_fmac_f64_e32 v[42:43], v[42:43], v[46:47]
	v_fmac_f64_e32 v[44:45], v[48:49], v[42:43]
	v_fma_f64 v[46:47], -v[44:45], v[44:45], v[4:5]
	v_fmac_f64_e32 v[44:45], v[46:47], v[42:43]
	v_ldexp_f64 v[42:43], v[44:45], v9
	v_cndmask_b32_e32 v5, v43, v5, vcc
	v_cndmask_b32_e32 v4, v42, v4, vcc
	v_mul_f64 v[42:43], |v[34:35]|, v[4:5]
.LBB68_196:                             ;   in Loop: Header=BB68_148 Depth=2
	s_or_b64 exec, exec, s[72:73]
.LBB68_197:                             ;   in Loop: Header=BB68_148 Depth=2
	s_andn2_saveexec_b64 s[6:7], s[6:7]
	s_cbranch_execz .LBB68_199
; %bb.198:                              ;   in Loop: Header=BB68_148 Depth=2
	v_and_b32_e32 v5, 0x7fffffff, v35
	v_mov_b32_e32 v4, v34
	v_and_b32_e32 v43, 0x7fffffff, v39
	v_mov_b32_e32 v42, v38
	v_div_scale_f64 v[44:45], s[42:43], v[42:43], v[42:43], v[4:5]
	v_rcp_f64_e32 v[46:47], v[44:45]
	v_div_scale_f64 v[4:5], vcc, v[4:5], v[42:43], v[4:5]
	v_fma_f64 v[48:49], -v[44:45], v[46:47], 1.0
	v_fmac_f64_e32 v[46:47], v[46:47], v[48:49]
	v_fma_f64 v[48:49], -v[44:45], v[46:47], 1.0
	v_fmac_f64_e32 v[46:47], v[46:47], v[48:49]
	v_mul_f64 v[42:43], v[4:5], v[46:47]
	v_fma_f64 v[4:5], -v[44:45], v[42:43], v[4:5]
	v_div_fmas_f64 v[4:5], v[4:5], v[46:47], v[42:43]
	v_div_fixup_f64 v[4:5], v[4:5], |v[38:39]|, |v[34:35]|
	v_fma_f64 v[4:5], v[4:5], v[4:5], 1.0
	v_cmp_gt_f64_e32 vcc, s[64:65], v[4:5]
	v_cndmask_b32_e64 v9, 0, 1, vcc
	v_lshlrev_b32_e32 v9, 8, v9
	v_ldexp_f64 v[4:5], v[4:5], v9
	v_rsq_f64_e32 v[42:43], v[4:5]
	v_cndmask_b32_e32 v9, 0, v60, vcc
	v_cmp_class_f64_e32 vcc, v[4:5], v59
	v_mul_f64 v[44:45], v[4:5], v[42:43]
	v_mul_f64 v[42:43], v[42:43], 0.5
	v_fma_f64 v[46:47], -v[42:43], v[44:45], 0.5
	v_fmac_f64_e32 v[44:45], v[44:45], v[46:47]
	v_fma_f64 v[48:49], -v[44:45], v[44:45], v[4:5]
	v_fmac_f64_e32 v[42:43], v[42:43], v[46:47]
	v_fmac_f64_e32 v[44:45], v[48:49], v[42:43]
	v_fma_f64 v[46:47], -v[44:45], v[44:45], v[4:5]
	v_fmac_f64_e32 v[44:45], v[46:47], v[42:43]
	v_ldexp_f64 v[42:43], v[44:45], v9
	v_cndmask_b32_e32 v5, v43, v5, vcc
	v_cndmask_b32_e32 v4, v42, v4, vcc
	v_mul_f64 v[42:43], |v[38:39]|, v[4:5]
.LBB68_199:                             ;   in Loop: Header=BB68_148 Depth=2
	s_or_b64 exec, exec, s[6:7]
	v_add_f64 v[46:47], v[36:37], v[2:3]
	v_cmp_gt_f64_e64 vcc, |v[2:3]|, |v[36:37]|
	v_cndmask_b32_e32 v45, v3, v37, vcc
	v_cndmask_b32_e32 v44, v2, v36, vcc
	;; [unrolled: 1-line block ×4, first 2 shown]
	v_cmp_ngt_f64_e32 vcc, 0, v[46:47]
                                        ; implicit-def: $vgpr9
                                        ; implicit-def: $vgpr4_vgpr5
	s_and_saveexec_b64 s[6:7], vcc
	s_xor_b64 s[6:7], exec, s[6:7]
	s_cbranch_execz .LBB68_205
; %bb.200:                              ;   in Loop: Header=BB68_148 Depth=2
	v_cmp_nlt_f64_e32 vcc, 0, v[46:47]
                                        ; implicit-def: $sgpr17
                                        ; implicit-def: $vgpr4_vgpr5
	s_and_saveexec_b64 s[42:43], vcc
	s_xor_b64 s[72:73], exec, s[42:43]
; %bb.201:                              ;   in Loop: Header=BB68_148 Depth=2
	v_mul_f64 v[2:3], v[42:43], 0.5
	v_mul_f64 v[4:5], v[42:43], -0.5
	s_mov_b32 s17, 1
                                        ; implicit-def: $vgpr46_vgpr47
                                        ; implicit-def: $vgpr36_vgpr37
                                        ; implicit-def: $vgpr40_vgpr41
                                        ; implicit-def: $vgpr44_vgpr45
; %bb.202:                              ;   in Loop: Header=BB68_148 Depth=2
	s_or_saveexec_b64 s[72:73], s[72:73]
	v_mov_b32_e32 v9, s17
	s_xor_b64 exec, exec, s[72:73]
	s_cbranch_execz .LBB68_204
; %bb.203:                              ;   in Loop: Header=BB68_148 Depth=2
	v_add_f64 v[2:3], v[46:47], v[42:43]
	v_mul_f64 v[2:3], v[2:3], 0.5
	v_div_scale_f64 v[4:5], s[42:43], v[2:3], v[2:3], v[36:37]
	v_rcp_f64_e32 v[46:47], v[4:5]
	v_div_scale_f64 v[48:49], vcc, v[36:37], v[2:3], v[36:37]
	v_mov_b32_e32 v9, 1
	v_fma_f64 v[50:51], -v[4:5], v[46:47], 1.0
	v_fmac_f64_e32 v[46:47], v[46:47], v[50:51]
	v_fma_f64 v[50:51], -v[4:5], v[46:47], 1.0
	v_fmac_f64_e32 v[46:47], v[46:47], v[50:51]
	v_mul_f64 v[50:51], v[48:49], v[46:47]
	v_fma_f64 v[4:5], -v[4:5], v[50:51], v[48:49]
	v_div_scale_f64 v[48:49], s[42:43], v[2:3], v[2:3], v[40:41]
	v_rcp_f64_e32 v[52:53], v[48:49]
	v_div_fmas_f64 v[4:5], v[4:5], v[46:47], v[50:51]
	v_div_fixup_f64 v[4:5], v[4:5], v[2:3], v[36:37]
	v_fma_f64 v[36:37], -v[48:49], v[52:53], 1.0
	v_fmac_f64_e32 v[52:53], v[52:53], v[36:37]
	v_fma_f64 v[36:37], -v[48:49], v[52:53], 1.0
	v_fmac_f64_e32 v[52:53], v[52:53], v[36:37]
	v_div_scale_f64 v[36:37], vcc, v[40:41], v[2:3], v[40:41]
	v_mul_f64 v[46:47], v[36:37], v[52:53]
	v_fma_f64 v[36:37], -v[48:49], v[46:47], v[36:37]
	s_nop 1
	v_div_fmas_f64 v[36:37], v[36:37], v[52:53], v[46:47]
	v_div_fixup_f64 v[36:37], v[36:37], v[2:3], v[40:41]
	v_mul_f64 v[36:37], v[40:41], v[36:37]
	v_fma_f64 v[4:5], v[44:45], v[4:5], -v[36:37]
.LBB68_204:                             ;   in Loop: Header=BB68_148 Depth=2
	s_or_b64 exec, exec, s[72:73]
                                        ; implicit-def: $vgpr46_vgpr47
                                        ; implicit-def: $vgpr36_vgpr37
                                        ; implicit-def: $vgpr40_vgpr41
                                        ; implicit-def: $vgpr44_vgpr45
.LBB68_205:                             ;   in Loop: Header=BB68_148 Depth=2
	s_andn2_saveexec_b64 s[6:7], s[6:7]
	s_cbranch_execz .LBB68_207
; %bb.206:                              ;   in Loop: Header=BB68_148 Depth=2
	v_add_f64 v[2:3], v[46:47], -v[42:43]
	v_mul_f64 v[2:3], v[2:3], 0.5
	v_div_scale_f64 v[4:5], s[42:43], v[2:3], v[2:3], v[36:37]
	v_rcp_f64_e32 v[46:47], v[4:5]
	v_div_scale_f64 v[48:49], vcc, v[36:37], v[2:3], v[36:37]
	v_mov_b32_e32 v9, -1
	v_fma_f64 v[50:51], -v[4:5], v[46:47], 1.0
	v_fmac_f64_e32 v[46:47], v[46:47], v[50:51]
	v_fma_f64 v[50:51], -v[4:5], v[46:47], 1.0
	v_fmac_f64_e32 v[46:47], v[46:47], v[50:51]
	v_mul_f64 v[50:51], v[48:49], v[46:47]
	v_fma_f64 v[4:5], -v[4:5], v[50:51], v[48:49]
	v_div_scale_f64 v[48:49], s[42:43], v[2:3], v[2:3], v[40:41]
	v_rcp_f64_e32 v[52:53], v[48:49]
	v_div_fmas_f64 v[4:5], v[4:5], v[46:47], v[50:51]
	v_div_fixup_f64 v[4:5], v[4:5], v[2:3], v[36:37]
	v_fma_f64 v[36:37], -v[48:49], v[52:53], 1.0
	v_fmac_f64_e32 v[52:53], v[52:53], v[36:37]
	v_fma_f64 v[36:37], -v[48:49], v[52:53], 1.0
	v_fmac_f64_e32 v[52:53], v[52:53], v[36:37]
	v_div_scale_f64 v[36:37], vcc, v[40:41], v[2:3], v[40:41]
	v_mul_f64 v[46:47], v[36:37], v[52:53]
	v_fma_f64 v[36:37], -v[48:49], v[46:47], v[36:37]
	s_nop 1
	v_div_fmas_f64 v[36:37], v[36:37], v[52:53], v[46:47]
	v_div_fixup_f64 v[36:37], v[36:37], v[2:3], v[40:41]
	v_mul_f64 v[36:37], v[40:41], v[36:37]
	v_fma_f64 v[4:5], v[44:45], v[4:5], -v[36:37]
.LBB68_207:                             ;   in Loop: Header=BB68_148 Depth=2
	s_or_b64 exec, exec, s[6:7]
	v_xor_b32_e32 v27, 0x80000000, v43
	v_cmp_nle_f64_e64 s[6:7], 0, v[38:39]
	v_cndmask_b32_e64 v37, v43, v27, s[6:7]
	v_cndmask_b32_e64 v36, v42, v42, s[6:7]
	v_add_f64 v[36:37], v[38:39], v[36:37]
	v_cmp_ngt_f64_e64 s[42:43], |v[36:37]|, |v[34:35]|
                                        ; implicit-def: $vgpr38_vgpr39
                                        ; implicit-def: $vgpr40_vgpr41
	s_and_saveexec_b64 s[72:73], s[42:43]
	s_xor_b64 s[72:73], exec, s[72:73]
	s_cbranch_execz .LBB68_211
; %bb.208:                              ;   in Loop: Header=BB68_148 Depth=2
	v_mov_b32_e32 v40, 0
	v_cmp_neq_f64_e32 vcc, 0, v[34:35]
	v_pk_mov_b32 v[38:39], 0, 0
	v_mov_b32_e32 v41, 0x3ff00000
	s_and_saveexec_b64 s[74:75], vcc
	s_cbranch_execz .LBB68_210
; %bb.209:                              ;   in Loop: Header=BB68_148 Depth=2
	v_div_scale_f64 v[38:39], s[42:43], v[34:35], v[34:35], -v[36:37]
	v_rcp_f64_e32 v[40:41], v[38:39]
	v_div_scale_f64 v[42:43], vcc, -v[36:37], v[34:35], -v[36:37]
	v_fma_f64 v[44:45], -v[38:39], v[40:41], 1.0
	v_fmac_f64_e32 v[40:41], v[40:41], v[44:45]
	v_fma_f64 v[44:45], -v[38:39], v[40:41], 1.0
	v_fmac_f64_e32 v[40:41], v[40:41], v[44:45]
	v_mul_f64 v[44:45], v[42:43], v[40:41]
	v_fma_f64 v[38:39], -v[38:39], v[44:45], v[42:43]
	v_div_fmas_f64 v[38:39], v[38:39], v[40:41], v[44:45]
	v_div_fixup_f64 v[34:35], v[38:39], v[34:35], -v[36:37]
	v_fma_f64 v[36:37], v[34:35], v[34:35], 1.0
	v_cmp_gt_f64_e32 vcc, s[64:65], v[36:37]
	v_cndmask_b32_e64 v27, 0, 1, vcc
	v_lshlrev_b32_e32 v27, 8, v27
	v_ldexp_f64 v[36:37], v[36:37], v27
	v_rsq_f64_e32 v[38:39], v[36:37]
	v_cndmask_b32_e32 v27, 0, v60, vcc
	v_cmp_class_f64_e32 vcc, v[36:37], v59
	v_mul_f64 v[40:41], v[36:37], v[38:39]
	v_mul_f64 v[38:39], v[38:39], 0.5
	v_fma_f64 v[42:43], -v[38:39], v[40:41], 0.5
	v_fmac_f64_e32 v[40:41], v[40:41], v[42:43]
	v_fma_f64 v[44:45], -v[40:41], v[40:41], v[36:37]
	v_fmac_f64_e32 v[38:39], v[38:39], v[42:43]
	v_fmac_f64_e32 v[40:41], v[44:45], v[38:39]
	v_fma_f64 v[42:43], -v[40:41], v[40:41], v[36:37]
	v_fmac_f64_e32 v[40:41], v[42:43], v[38:39]
	v_ldexp_f64 v[38:39], v[40:41], v27
	v_cndmask_b32_e32 v37, v39, v37, vcc
	v_cndmask_b32_e32 v36, v38, v36, vcc
	v_div_scale_f64 v[38:39], s[42:43], v[36:37], v[36:37], 1.0
	v_rcp_f64_e32 v[40:41], v[38:39]
	v_fma_f64 v[42:43], -v[38:39], v[40:41], 1.0
	v_fmac_f64_e32 v[40:41], v[40:41], v[42:43]
	v_fma_f64 v[42:43], -v[38:39], v[40:41], 1.0
	v_fmac_f64_e32 v[40:41], v[40:41], v[42:43]
	v_div_scale_f64 v[42:43], vcc, 1.0, v[36:37], 1.0
	v_mul_f64 v[44:45], v[42:43], v[40:41]
	v_fma_f64 v[38:39], -v[38:39], v[44:45], v[42:43]
	s_nop 1
	v_div_fmas_f64 v[38:39], v[38:39], v[40:41], v[44:45]
	v_div_fixup_f64 v[40:41], v[38:39], v[36:37], 1.0
	v_mul_f64 v[38:39], v[34:35], v[40:41]
.LBB68_210:                             ;   in Loop: Header=BB68_148 Depth=2
	s_or_b64 exec, exec, s[74:75]
                                        ; implicit-def: $vgpr36_vgpr37
                                        ; implicit-def: $vgpr34_vgpr35
.LBB68_211:                             ;   in Loop: Header=BB68_148 Depth=2
	s_andn2_saveexec_b64 s[72:73], s[72:73]
	s_cbranch_execz .LBB68_213
; %bb.212:                              ;   in Loop: Header=BB68_148 Depth=2
	v_div_scale_f64 v[38:39], s[42:43], v[36:37], v[36:37], -v[34:35]
	v_rcp_f64_e32 v[40:41], v[38:39]
	v_div_scale_f64 v[42:43], vcc, -v[34:35], v[36:37], -v[34:35]
	v_fma_f64 v[44:45], -v[38:39], v[40:41], 1.0
	v_fmac_f64_e32 v[40:41], v[40:41], v[44:45]
	v_fma_f64 v[44:45], -v[38:39], v[40:41], 1.0
	v_fmac_f64_e32 v[40:41], v[40:41], v[44:45]
	v_mul_f64 v[44:45], v[42:43], v[40:41]
	v_fma_f64 v[38:39], -v[38:39], v[44:45], v[42:43]
	v_div_fmas_f64 v[38:39], v[38:39], v[40:41], v[44:45]
	v_div_fixup_f64 v[34:35], v[38:39], v[36:37], -v[34:35]
	v_fma_f64 v[36:37], v[34:35], v[34:35], 1.0
	v_cmp_gt_f64_e32 vcc, s[64:65], v[36:37]
	v_cndmask_b32_e64 v27, 0, 1, vcc
	v_lshlrev_b32_e32 v27, 8, v27
	v_ldexp_f64 v[36:37], v[36:37], v27
	v_rsq_f64_e32 v[38:39], v[36:37]
	v_cndmask_b32_e32 v27, 0, v60, vcc
	v_cmp_class_f64_e32 vcc, v[36:37], v59
	v_mul_f64 v[40:41], v[36:37], v[38:39]
	v_mul_f64 v[38:39], v[38:39], 0.5
	v_fma_f64 v[42:43], -v[38:39], v[40:41], 0.5
	v_fmac_f64_e32 v[40:41], v[40:41], v[42:43]
	v_fma_f64 v[44:45], -v[40:41], v[40:41], v[36:37]
	v_fmac_f64_e32 v[38:39], v[38:39], v[42:43]
	v_fmac_f64_e32 v[40:41], v[44:45], v[38:39]
	v_fma_f64 v[42:43], -v[40:41], v[40:41], v[36:37]
	v_fmac_f64_e32 v[40:41], v[42:43], v[38:39]
	v_ldexp_f64 v[38:39], v[40:41], v27
	v_cndmask_b32_e32 v37, v39, v37, vcc
	v_cndmask_b32_e32 v36, v38, v36, vcc
	v_div_scale_f64 v[38:39], s[42:43], v[36:37], v[36:37], 1.0
	v_rcp_f64_e32 v[40:41], v[38:39]
	v_fma_f64 v[42:43], -v[38:39], v[40:41], 1.0
	v_fmac_f64_e32 v[40:41], v[40:41], v[42:43]
	v_fma_f64 v[42:43], -v[38:39], v[40:41], 1.0
	v_fmac_f64_e32 v[40:41], v[40:41], v[42:43]
	v_div_scale_f64 v[42:43], vcc, 1.0, v[36:37], 1.0
	v_mul_f64 v[44:45], v[42:43], v[40:41]
	v_fma_f64 v[38:39], -v[38:39], v[44:45], v[42:43]
	s_nop 1
	v_div_fmas_f64 v[38:39], v[38:39], v[40:41], v[44:45]
	v_div_fixup_f64 v[38:39], v[38:39], v[36:37], 1.0
	v_mul_f64 v[40:41], v[34:35], v[38:39]
.LBB68_213:                             ;   in Loop: Header=BB68_148 Depth=2
	s_or_b64 exec, exec, s[72:73]
	v_cndmask_b32_e64 v27, 1, -1, s[6:7]
	v_xor_b32_e32 v34, 0x80000000, v39
	v_cmp_eq_u32_e32 vcc, v9, v27
	v_cndmask_b32_e32 v35, v41, v34, vcc
	v_cndmask_b32_e32 v34, v40, v38, vcc
	;; [unrolled: 1-line block ×4, first 2 shown]
	v_mov_b32_e32 v9, s66
	v_add_co_u32_e32 v28, vcc, s95, v28
	v_addc_co_u32_e32 v29, vcc, v9, v29, vcc
	global_store_dwordx2 v[28:29], v[34:35], off
	v_mov_b32_e32 v9, s55
	v_add_co_u32_e32 v28, vcc, s54, v28
	v_addc_co_u32_e32 v29, vcc, v29, v9, vcc
	global_store_dwordx2 v[28:29], v[36:37], off offset:-8
	global_store_dwordx4 v[30:31], v[2:5], off offset:-8
	v_mov_b32_e32 v9, v8
	v_mov_b32_e32 v3, s49
	v_add_co_u32_e32 v2, vcc, s48, v32
	v_addc_co_u32_e32 v3, vcc, v3, v33, vcc
	global_store_dwordx2 v[2:3], v[8:9], off
	v_add_u32_e32 v2, -2, v26
	ds_write_b32 v8, v2 offset:16
	s_or_b64 exec, exec, s[70:71]
                                        ; implicit-def: $vgpr3
.LBB68_214:                             ;   in Loop: Header=BB68_148 Depth=2
	s_andn2_saveexec_b64 s[6:7], s[68:69]
	s_cbranch_execz .LBB68_216
.LBB68_215:                             ;   in Loop: Header=BB68_148 Depth=2
	ds_write_b32 v8, v3 offset:16
.LBB68_216:                             ;   in Loop: Header=BB68_148 Depth=2
	s_or_b64 exec, exec, s[6:7]
.LBB68_217:                             ;   in Loop: Header=BB68_148 Depth=2
	s_or_b64 exec, exec, s[8:9]
	s_waitcnt lgkmcnt(0)
	s_barrier
	ds_read_b64 v[2:3], v8 offset:16
	s_waitcnt lgkmcnt(0)
	v_readfirstlane_b32 s8, v3
	v_cmp_eq_u32_e32 vcc, s8, v2
	v_mov_b32_e32 v26, s8
	s_cbranch_vccnz .LBB68_147
; %bb.218:                              ;   in Loop: Header=BB68_148 Depth=2
	s_and_saveexec_b64 s[6:7], s[2:3]
	s_cbranch_execz .LBB68_146
; %bb.219:                              ;   in Loop: Header=BB68_148 Depth=2
	ds_read_b32 v2, v8 offset:28
	s_ashr_i32 s9, s8, 31
	s_lshl_b64 s[68:69], s[8:9], 3
	s_mul_i32 s42, s8, s15
	v_mov_b32_e32 v28, v6
	s_waitcnt lgkmcnt(0)
	v_readfirstlane_b32 s9, v2
	s_sub_i32 s17, s9, s8
	s_add_u32 s8, s95, s68
	s_addc_u32 s9, s66, s69
	s_ashr_i32 s43, s42, 31
	s_lshl_b64 s[42:43], s[42:43], 4
	s_add_u32 s41, s93, s42
	s_addc_u32 s62, s94, s43
	s_cmp_gt_i32 s17, 0
	s_mul_hi_i32 s71, s17, s46
	s_mul_i32 s70, s17, s46
	s_cselect_b64 s[68:69], -1, 0
	s_lshl_b64 s[70:71], s[70:71], 4
	s_add_u32 s74, s41, s70
	v_mov_b32_e32 v2, s43
	v_add_co_u32_e32 v26, vcc, s42, v7
	s_addc_u32 s75, s62, s71
	v_addc_co_u32_e32 v27, vcc, v58, v2, vcc
	s_mov_b64 s[70:71], 0
	s_branch .LBB68_221
.LBB68_220:                             ;   in Loop: Header=BB68_221 Depth=3
	v_mov_b32_e32 v9, s75
	v_add_co_u32_e32 v30, vcc, s74, v30
	v_addc_co_u32_e32 v31, vcc, v9, v31, vcc
	v_add_u32_e32 v28, s36, v28
	v_cmp_le_i32_e32 vcc, s10, v28
	s_waitcnt vmcnt(0)
	global_store_dwordx4 v[30:31], v[2:5], off
	s_or_b64 s[70:71], vcc, s[70:71]
	v_mov_b32_e32 v2, s61
	v_add_co_u32_e32 v26, vcc, s60, v26
	v_addc_co_u32_e32 v27, vcc, v27, v2, vcc
	s_andn2_b64 exec, exec, s[70:71]
	s_cbranch_execz .LBB68_146
.LBB68_221:                             ;   Parent Loop BB68_7 Depth=1
                                        ;     Parent Loop BB68_148 Depth=2
                                        ; =>    This Loop Header: Depth=3
                                        ;         Child Loop BB68_222 Depth 4
	v_ashrrev_i32_e32 v29, 31, v28
	v_lshlrev_b64 v[30:31], 4, v[28:29]
	v_mov_b32_e32 v3, s62
	v_add_co_u32_e32 v2, vcc, s41, v30
	v_addc_co_u32_e32 v3, vcc, v3, v31, vcc
	global_load_dwordx4 v[2:5], v[2:3], off
	s_andn2_b64 vcc, exec, s[68:69]
	s_mov_b64 s[72:73], s[8:9]
	v_pk_mov_b32 v[32:33], v[26:27], v[26:27] op_sel:[0,1]
	s_mov_b32 s76, s17
	s_cbranch_vccnz .LBB68_220
.LBB68_222:                             ;   Parent Loop BB68_7 Depth=1
                                        ;     Parent Loop BB68_148 Depth=2
                                        ;       Parent Loop BB68_221 Depth=3
                                        ; =>      This Inner Loop Header: Depth=4
	s_add_u32 s42, s72, s11
	s_addc_u32 s43, s73, s27
	v_mov_b32_e32 v9, s59
	v_add_co_u32_e32 v44, vcc, s58, v32
	global_load_dwordx2 v[42:43], v8, s[42:43]
	v_addc_co_u32_e32 v45, vcc, v33, v9, vcc
	global_load_dwordx4 v[34:37], v[44:45], off offset:-8
	global_load_dwordx2 v[46:47], v8, s[72:73]
	s_add_i32 s76, s76, -1
	s_add_u32 s72, s72, 8
	s_addc_u32 s73, s73, 0
	s_cmp_eq_u32 s76, 0
	s_waitcnt vmcnt(2)
	v_mul_f64 v[48:49], v[2:3], v[42:43]
	s_waitcnt vmcnt(1)
	v_mul_f64 v[38:39], v[42:43], v[34:35]
	v_mul_f64 v[40:41], v[42:43], v[36:37]
	;; [unrolled: 1-line block ×3, first 2 shown]
	s_waitcnt vmcnt(0)
	v_fmac_f64_e32 v[38:39], v[2:3], v[46:47]
	v_fmac_f64_e32 v[40:41], v[4:5], v[46:47]
	v_fma_f64 v[2:3], v[46:47], v[34:35], -v[48:49]
	v_fma_f64 v[4:5], v[46:47], v[36:37], -v[42:43]
	global_store_dwordx4 v[32:33], v[38:41], off offset:-8
	v_pk_mov_b32 v[32:33], v[44:45], v[44:45] op_sel:[0,1]
	s_cbranch_scc0 .LBB68_222
	s_branch .LBB68_220
.LBB68_223:                             ;   in Loop: Header=BB68_148 Depth=2
	s_or_b64 exec, exec, s[70:71]
                                        ; implicit-def: $vgpr3
	s_andn2_saveexec_b64 s[6:7], s[68:69]
	s_cbranch_execnz .LBB68_215
	s_branch .LBB68_216
.LBB68_224:
	v_cmp_gt_i32_e32 vcc, s40, v6
	s_and_saveexec_b64 s[2:3], vcc
	s_cbranch_execz .LBB68_230
; %bb.225:
	s_lshl_b64 s[4:5], s[38:39], 2
	s_add_u32 s6, s18, s4
	s_addc_u32 s7, s19, s5
	v_readlane_b32 s4, v70, 2
	v_readlane_b32 s5, v70, 3
	s_lshl_b64 s[4:5], s[4:5], 3
	v_ashrrev_i32_e32 v7, 31, v6
	s_add_u32 s4, s24, s4
	v_lshlrev_b64 v[2:3], 3, v[6:7]
	s_addc_u32 s5, s25, s5
	s_ashr_i32 s37, s36, 31
	v_mov_b32_e32 v4, s5
	v_add_co_u32_e32 v2, vcc, s4, v2
	s_lshl_b64 s[8:9], s[36:37], 3
	v_addc_co_u32_e32 v3, vcc, v4, v3, vcc
	s_mov_b64 s[18:19], 0
	v_mov_b32_e32 v4, 0
	v_mov_b32_e32 v5, s9
	s_branch .LBB68_227
.LBB68_226:                             ;   in Loop: Header=BB68_227 Depth=1
	s_or_b64 exec, exec, s[24:25]
	v_add_u32_e32 v6, s36, v6
	v_cmp_le_i32_e32 vcc, s40, v6
	s_or_b64 s[18:19], vcc, s[18:19]
	v_add_co_u32_e32 v2, vcc, s8, v2
	v_addc_co_u32_e32 v3, vcc, v3, v5, vcc
	s_andn2_b64 exec, exec, s[18:19]
	s_cbranch_execz .LBB68_230
.LBB68_227:                             ; =>This Inner Loop Header: Depth=1
	global_load_dwordx2 v[8:9], v[2:3], off
	s_waitcnt vmcnt(0)
	v_cmp_neq_f64_e32 vcc, 0, v[8:9]
	s_and_saveexec_b64 s[24:25], vcc
	s_cbranch_execz .LBB68_226
; %bb.228:                              ;   in Loop: Header=BB68_227 Depth=1
	s_mov_b64 s[28:29], exec
	v_mbcnt_lo_u32_b32 v7, s28, 0
	v_mbcnt_hi_u32_b32 v7, s29, v7
	v_cmp_eq_u32_e32 vcc, 0, v7
	s_and_b64 s[4:5], exec, vcc
	s_mov_b64 exec, s[4:5]
	s_cbranch_execz .LBB68_226
; %bb.229:                              ;   in Loop: Header=BB68_227 Depth=1
	s_bcnt1_i32_b64 s4, s[28:29]
	v_mov_b32_e32 v7, s4
	global_atomic_add v4, v7, s[6:7]
	s_branch .LBB68_226
.LBB68_230:
	s_or_b64 exec, exec, s[2:3]
	s_cmp_lt_i32 s10, 2
	s_cbranch_scc1 .LBB68_243
; %bb.231:
	v_readlane_b32 s2, v70, 0
	v_readlane_b32 s3, v70, 1
	s_load_dwordx2 s[2:3], s[2:3], 0x4
	v_bfe_u32 v2, v0, 10, 10
	v_readlane_b32 s4, v70, 6
	v_readlane_b32 s6, v70, 4
	;; [unrolled: 1-line block ×3, first 2 shown]
	s_waitcnt lgkmcnt(0)
	s_lshr_b32 s2, s2, 16
	s_add_u32 s11, s22, -8
	s_mul_i32 s2, s2, s3
	s_addc_u32 s14, s23, -1
	v_mul_lo_u32 v1, s2, v1
	s_add_u32 s2, s34, s20
	v_mul_u32_u24_e32 v2, s3, v2
	s_addc_u32 s3, s35, s21
	s_add_u32 s2, s2, 8
	v_readlane_b32 s7, v70, 5
	s_addc_u32 s3, s3, 0
	s_lshl_b64 s[4:5], s[4:5], 4
	s_lshl_b64 s[6:7], s[6:7], 4
	s_add_u32 s4, s4, s6
	v_bfe_u32 v0, v0, 20, 10
	s_addc_u32 s5, s5, s7
	v_add3_u32 v0, v1, v2, v0
	s_add_u32 s18, s12, s4
	v_lshl_add_u32 v6, v0, 4, 48
	s_addc_u32 s19, s13, s5
	s_mov_b32 s4, 1
	v_mov_b32_e32 v7, 0
	s_branch .LBB68_233
.LBB68_232:                             ;   in Loop: Header=BB68_233 Depth=1
	s_add_i32 s4, s4, 1
	s_add_u32 s2, s2, 8
	s_addc_u32 s3, s3, 0
	s_cmp_lg_u32 s4, s10
	s_waitcnt lgkmcnt(0)
	s_barrier
	s_cbranch_scc0 .LBB68_243
.LBB68_233:                             ; =>This Loop Header: Depth=1
                                        ;     Child Loop BB68_236 Depth 2
                                        ;     Child Loop BB68_242 Depth 2
	s_and_saveexec_b64 s[6:7], s[0:1]
	s_cbranch_execz .LBB68_240
; %bb.234:                              ;   in Loop: Header=BB68_233 Depth=1
	s_ashr_i32 s5, s4, 31
	s_add_i32 s17, s4, -1
	s_lshl_b64 s[8:9], s[4:5], 3
	s_add_u32 s8, s11, s8
	s_addc_u32 s9, s14, s9
	global_load_dwordx2 v[0:1], v7, s[8:9]
	v_mov_b32_e32 v2, s17
	v_mov_b32_e32 v3, s17
	s_mov_b64 s[12:13], s[2:3]
	s_mov_b32 s5, s4
	s_mov_b32 s16, s17
	s_waitcnt vmcnt(0)
	ds_write2_b64 v7, v[0:1], v[2:3] offset1:2
	v_pk_mov_b32 v[2:3], v[0:1], v[0:1] op_sel:[0,1]
	s_branch .LBB68_236
.LBB68_235:                             ;   in Loop: Header=BB68_236 Depth=2
	s_add_i32 s5, s5, 1
	s_add_u32 s12, s12, 8
	s_addc_u32 s13, s13, 0
	s_cmp_ge_i32 s5, s10
	s_cbranch_scc1 .LBB68_238
.LBB68_236:                             ;   Parent Loop BB68_233 Depth=1
                                        ; =>  This Inner Loop Header: Depth=2
	global_load_dwordx2 v[4:5], v7, s[12:13]
	s_waitcnt vmcnt(0)
	v_cmp_nlt_f64_e32 vcc, v[4:5], v[2:3]
	s_cbranch_vccnz .LBB68_235
; %bb.237:                              ;   in Loop: Header=BB68_236 Depth=2
	v_mov_b32_e32 v2, s5
	ds_write_b32 v7, v2 offset:20
	ds_write_b64 v7, v[4:5]
	s_mov_b32 s16, s5
	v_pk_mov_b32 v[2:3], v[4:5], v[4:5] op_sel:[0,1]
	s_branch .LBB68_235
.LBB68_238:                             ;   in Loop: Header=BB68_233 Depth=1
	s_cmp_lg_u32 s16, s17
	s_cbranch_scc0 .LBB68_240
; %bb.239:                              ;   in Loop: Header=BB68_233 Depth=1
	s_ashr_i32 s17, s16, 31
	s_lshl_b64 s[12:13], s[16:17], 3
	s_add_u32 s12, s22, s12
	s_addc_u32 s13, s23, s13
	global_store_dwordx2 v7, v[0:1], s[12:13]
	global_store_dwordx2 v7, v[2:3], s[8:9]
.LBB68_240:                             ;   in Loop: Header=BB68_233 Depth=1
	s_or_b64 exec, exec, s[6:7]
	s_waitcnt lgkmcnt(0)
	s_barrier
	ds_read_b64 v[0:1], v7 offset:16
	s_waitcnt lgkmcnt(0)
	v_readfirstlane_b32 s5, v0
	v_readfirstlane_b32 s6, v1
	s_cmp_eq_u32 s6, s5
	s_cbranch_scc1 .LBB68_232
; %bb.241:                              ;   in Loop: Header=BB68_233 Depth=1
	s_mul_i32 s6, s6, s15
	s_ashr_i32 s7, s6, 31
	s_lshl_b64 s[6:7], s[6:7], 4
	s_mul_i32 s8, s5, s15
	s_add_u32 s6, s18, s6
	s_addc_u32 s7, s19, s7
	s_ashr_i32 s9, s8, 31
	s_lshl_b64 s[8:9], s[8:9], 4
	s_add_u32 s8, s18, s8
	s_addc_u32 s9, s19, s9
	s_mov_b32 s5, s10
.LBB68_242:                             ;   Parent Loop BB68_233 Depth=1
                                        ; =>  This Inner Loop Header: Depth=2
	global_load_dwordx4 v[0:3], v7, s[6:7]
	global_load_dwordx4 v[8:11], v7, s[8:9]
	s_add_i32 s5, s5, -1
	s_waitcnt vmcnt(1)
	global_store_dwordx4 v7, v[0:3], s[8:9]
	s_waitcnt vmcnt(1)
	global_store_dwordx4 v7, v[8:11], s[6:7]
	s_add_u32 s6, s6, 16
	s_addc_u32 s7, s7, 0
	s_add_u32 s8, s8, 16
	s_addc_u32 s9, s9, 0
	s_cmp_lg_u32 s5, 0
	ds_write2_b64 v6, v[8:9], v[10:11] offset1:1
	s_cbranch_scc1 .LBB68_242
	s_branch .LBB68_232
.LBB68_243:
	s_endpgm
	.section	.rodata,"a",@progbits
	.p2align	6, 0x0
	.amdhsa_kernel _ZN9rocsolver6v33100L12steqr_kernelI19rocblas_complex_numIdEdPS3_EEviPT0_lS6_lT1_iilPiS6_iS5_S5_S5_
		.amdhsa_group_segment_fixed_size 16432
		.amdhsa_private_segment_fixed_size 0
		.amdhsa_kernarg_size 368
		.amdhsa_user_sgpr_count 8
		.amdhsa_user_sgpr_private_segment_buffer 1
		.amdhsa_user_sgpr_dispatch_ptr 1
		.amdhsa_user_sgpr_queue_ptr 0
		.amdhsa_user_sgpr_kernarg_segment_ptr 1
		.amdhsa_user_sgpr_dispatch_id 0
		.amdhsa_user_sgpr_flat_scratch_init 0
		.amdhsa_user_sgpr_kernarg_preload_length 0
		.amdhsa_user_sgpr_kernarg_preload_offset 0
		.amdhsa_user_sgpr_private_segment_size 0
		.amdhsa_uses_dynamic_stack 0
		.amdhsa_system_sgpr_private_segment_wavefront_offset 0
		.amdhsa_system_sgpr_workgroup_id_x 1
		.amdhsa_system_sgpr_workgroup_id_y 1
		.amdhsa_system_sgpr_workgroup_id_z 0
		.amdhsa_system_sgpr_workgroup_info 0
		.amdhsa_system_vgpr_workitem_id 2
		.amdhsa_next_free_vgpr 71
		.amdhsa_next_free_sgpr 96
		.amdhsa_accum_offset 72
		.amdhsa_reserve_vcc 1
		.amdhsa_reserve_flat_scratch 0
		.amdhsa_float_round_mode_32 0
		.amdhsa_float_round_mode_16_64 0
		.amdhsa_float_denorm_mode_32 3
		.amdhsa_float_denorm_mode_16_64 3
		.amdhsa_dx10_clamp 1
		.amdhsa_ieee_mode 1
		.amdhsa_fp16_overflow 0
		.amdhsa_tg_split 0
		.amdhsa_exception_fp_ieee_invalid_op 0
		.amdhsa_exception_fp_denorm_src 0
		.amdhsa_exception_fp_ieee_div_zero 0
		.amdhsa_exception_fp_ieee_overflow 0
		.amdhsa_exception_fp_ieee_underflow 0
		.amdhsa_exception_fp_ieee_inexact 0
		.amdhsa_exception_int_div_zero 0
	.end_amdhsa_kernel
	.section	.text._ZN9rocsolver6v33100L12steqr_kernelI19rocblas_complex_numIdEdPS3_EEviPT0_lS6_lT1_iilPiS6_iS5_S5_S5_,"axG",@progbits,_ZN9rocsolver6v33100L12steqr_kernelI19rocblas_complex_numIdEdPS3_EEviPT0_lS6_lT1_iilPiS6_iS5_S5_S5_,comdat
.Lfunc_end68:
	.size	_ZN9rocsolver6v33100L12steqr_kernelI19rocblas_complex_numIdEdPS3_EEviPT0_lS6_lT1_iilPiS6_iS5_S5_S5_, .Lfunc_end68-_ZN9rocsolver6v33100L12steqr_kernelI19rocblas_complex_numIdEdPS3_EEviPT0_lS6_lT1_iilPiS6_iS5_S5_S5_
                                        ; -- End function
	.section	.AMDGPU.csdata,"",@progbits
; Kernel info:
; codeLenInByte = 14428
; NumSgprs: 100
; NumVgprs: 71
; NumAgprs: 0
; TotalNumVgprs: 71
; ScratchSize: 0
; MemoryBound: 0
; FloatMode: 240
; IeeeMode: 1
; LDSByteSize: 16432 bytes/workgroup (compile time only)
; SGPRBlocks: 12
; VGPRBlocks: 8
; NumSGPRsForWavesPerEU: 100
; NumVGPRsForWavesPerEU: 71
; AccumOffset: 72
; Occupancy: 7
; WaveLimiterHint : 0
; COMPUTE_PGM_RSRC2:SCRATCH_EN: 0
; COMPUTE_PGM_RSRC2:USER_SGPR: 8
; COMPUTE_PGM_RSRC2:TRAP_HANDLER: 0
; COMPUTE_PGM_RSRC2:TGID_X_EN: 1
; COMPUTE_PGM_RSRC2:TGID_Y_EN: 1
; COMPUTE_PGM_RSRC2:TGID_Z_EN: 0
; COMPUTE_PGM_RSRC2:TIDIG_COMP_CNT: 2
; COMPUTE_PGM_RSRC3_GFX90A:ACCUM_OFFSET: 17
; COMPUTE_PGM_RSRC3_GFX90A:TG_SPLIT: 0
	.section	.text._ZN9rocsolver6v33100L8copy_matI19rocblas_complex_numIdEdLb0EPS3_TnNSt9enable_ifIX18rocblas_is_complexIT_EEiE4typeELi0EEEvNS0_17copymat_directionEiiT2_iilPT0_13rocblas_fill_17rocblas_diagonal_,"axG",@progbits,_ZN9rocsolver6v33100L8copy_matI19rocblas_complex_numIdEdLb0EPS3_TnNSt9enable_ifIX18rocblas_is_complexIT_EEiE4typeELi0EEEvNS0_17copymat_directionEiiT2_iilPT0_13rocblas_fill_17rocblas_diagonal_,comdat
	.globl	_ZN9rocsolver6v33100L8copy_matI19rocblas_complex_numIdEdLb0EPS3_TnNSt9enable_ifIX18rocblas_is_complexIT_EEiE4typeELi0EEEvNS0_17copymat_directionEiiT2_iilPT0_13rocblas_fill_17rocblas_diagonal_ ; -- Begin function _ZN9rocsolver6v33100L8copy_matI19rocblas_complex_numIdEdLb0EPS3_TnNSt9enable_ifIX18rocblas_is_complexIT_EEiE4typeELi0EEEvNS0_17copymat_directionEiiT2_iilPT0_13rocblas_fill_17rocblas_diagonal_
	.p2align	8
	.type	_ZN9rocsolver6v33100L8copy_matI19rocblas_complex_numIdEdLb0EPS3_TnNSt9enable_ifIX18rocblas_is_complexIT_EEiE4typeELi0EEEvNS0_17copymat_directionEiiT2_iilPT0_13rocblas_fill_17rocblas_diagonal_,@function
_ZN9rocsolver6v33100L8copy_matI19rocblas_complex_numIdEdLb0EPS3_TnNSt9enable_ifIX18rocblas_is_complexIT_EEiE4typeELi0EEEvNS0_17copymat_directionEiiT2_iilPT0_13rocblas_fill_17rocblas_diagonal_: ; @_ZN9rocsolver6v33100L8copy_matI19rocblas_complex_numIdEdLb0EPS3_TnNSt9enable_ifIX18rocblas_is_complexIT_EEiE4typeELi0EEEvNS0_17copymat_directionEiiT2_iilPT0_13rocblas_fill_17rocblas_diagonal_
; %bb.0:
	s_load_dwordx4 s[12:15], s[4:5], 0x0
	s_load_dword s0, s[4:5], 0x44
	v_bfe_u32 v1, v0, 10, 10
	v_and_b32_e32 v0, 0x3ff, v0
	s_waitcnt lgkmcnt(0)
	s_lshr_b32 s1, s0, 16
	s_and_b32 s0, s0, 0xffff
	s_mul_i32 s7, s7, s1
	s_mul_i32 s6, s6, s0
	v_add_u32_e32 v1, s7, v1
	v_add_u32_e32 v0, s6, v0
	v_cmp_gt_u32_e32 vcc, s13, v0
	v_cmp_gt_u32_e64 s[0:1], s14, v1
	s_and_b64 s[0:1], s[0:1], vcc
	s_and_saveexec_b64 s[2:3], s[0:1]
	s_cbranch_execz .LBB69_16
; %bb.1:
	s_load_dwordx2 s[2:3], s[4:5], 0x30
	s_mov_b32 s9, s13
	s_waitcnt lgkmcnt(0)
	s_cmpk_lt_i32 s2, 0x7a
	s_cbranch_scc1 .LBB69_4
; %bb.2:
	s_cmpk_gt_i32 s2, 0x7a
	s_cbranch_scc0 .LBB69_5
; %bb.3:
	s_cmpk_lg_i32 s2, 0x7b
	s_mov_b64 s[6:7], -1
	s_cselect_b64 s[10:11], -1, 0
	s_cbranch_execz .LBB69_6
	s_branch .LBB69_7
.LBB69_4:
	s_mov_b64 s[10:11], 0
	s_mov_b64 s[6:7], 0
	s_cbranch_execnz .LBB69_8
	s_branch .LBB69_10
.LBB69_5:
	s_mov_b64 s[6:7], 0
	s_mov_b64 s[10:11], 0
.LBB69_6:
	v_cmp_gt_u32_e32 vcc, v0, v1
	v_cmp_le_u32_e64 s[0:1], v0, v1
	s_andn2_b64 s[6:7], s[6:7], exec
	s_and_b64 s[16:17], vcc, exec
	s_andn2_b64 s[10:11], s[10:11], exec
	s_and_b64 s[0:1], s[0:1], exec
	s_or_b64 s[6:7], s[6:7], s[16:17]
	s_or_b64 s[10:11], s[10:11], s[0:1]
.LBB69_7:
	s_branch .LBB69_10
.LBB69_8:
	s_cmpk_eq_i32 s2, 0x79
	s_mov_b64 s[10:11], -1
	s_cbranch_scc0 .LBB69_10
; %bb.9:
	v_cmp_gt_u32_e32 vcc, v1, v0
	v_cmp_le_u32_e64 s[0:1], v1, v0
	s_andn2_b64 s[6:7], s[6:7], exec
	s_and_b64 s[10:11], vcc, exec
	s_or_b64 s[6:7], s[6:7], s[10:11]
	s_orn2_b64 s[10:11], s[0:1], exec
.LBB69_10:
	s_and_saveexec_b64 s[0:1], s[10:11]
; %bb.11:
	s_cmpk_eq_i32 s3, 0x83
	s_cselect_b64 s[2:3], -1, 0
	v_cmp_eq_u32_e32 vcc, v0, v1
	s_and_b64 s[2:3], s[2:3], vcc
	s_andn2_b64 s[6:7], s[6:7], exec
	s_and_b64 s[2:3], s[2:3], exec
	s_or_b64 s[6:7], s[6:7], s[2:3]
; %bb.12:
	s_or_b64 exec, exec, s[0:1]
	s_and_b64 exec, exec, s[6:7]
	s_cbranch_execz .LBB69_16
; %bb.13:
	s_load_dwordx8 s[16:23], s[4:5], 0x10
	s_ashr_i32 s4, s13, 31
	s_ashr_i32 s5, s14, 31
	s_mul_i32 s4, s4, s8
	s_waitcnt lgkmcnt(0)
	s_mul_i32 s2, s8, s21
	s_mul_hi_u32 s3, s8, s20
	s_add_i32 s3, s3, s2
	s_mul_i32 s2, s8, s20
	s_ashr_i32 s1, s18, 31
	s_lshl_b64 s[2:3], s[2:3], 4
	s_mov_b32 s0, s18
	s_add_u32 s2, s16, s2
	s_addc_u32 s3, s17, s3
	s_lshl_b64 s[0:1], s[0:1], 4
	s_add_u32 s2, s2, s0
	s_mul_hi_u32 s0, s13, s8
	s_addc_u32 s3, s3, s1
	s_add_i32 s0, s0, s4
	s_mul_i32 s4, s13, s8
	s_mul_i32 s1, s4, s5
	s_mul_hi_u32 s5, s4, s14
	s_add_i32 s1, s5, s1
	s_mul_i32 s0, s0, s14
	s_add_i32 s1, s1, s0
	s_mul_i32 s0, s4, s14
	s_lshl_b64 s[0:1], s[0:1], 3
	s_add_u32 s4, s22, s0
	s_addc_u32 s5, s23, s1
	v_mad_u64_u32 v[4:5], s[0:1], v1, s19, v[0:1]
	v_mov_b32_e32 v5, 0
	s_cmp_lg_u32 s12, 0
	v_lshlrev_b64 v[2:3], 4, v[4:5]
	s_cbranch_scc0 .LBB69_17
; %bb.14:
	v_mad_u64_u32 v[6:7], s[0:1], v1, s9, v[0:1]
	v_mov_b32_e32 v7, v5
	v_lshlrev_b64 v[4:5], 3, v[6:7]
	v_mov_b32_e32 v6, s5
	v_add_co_u32_e32 v4, vcc, s4, v4
	v_addc_co_u32_e32 v5, vcc, v6, v5, vcc
	global_load_dwordx2 v[4:5], v[4:5], off
	v_mov_b32_e32 v7, s3
	v_add_co_u32_e32 v6, vcc, s2, v2
	v_addc_co_u32_e32 v7, vcc, v7, v3, vcc
	s_waitcnt vmcnt(0)
	global_store_dwordx2 v[6:7], v[4:5], off offset:8
	s_cbranch_execnz .LBB69_16
.LBB69_15:
	v_mov_b32_e32 v4, s3
	v_add_co_u32_e32 v2, vcc, s2, v2
	v_addc_co_u32_e32 v3, vcc, v4, v3, vcc
	global_load_dwordx2 v[2:3], v[2:3], off offset:8
	v_mad_u64_u32 v[0:1], s[0:1], v1, s9, v[0:1]
	v_mov_b32_e32 v1, 0
	v_lshlrev_b64 v[0:1], 3, v[0:1]
	v_mov_b32_e32 v4, s5
	v_add_co_u32_e32 v0, vcc, s4, v0
	v_addc_co_u32_e32 v1, vcc, v4, v1, vcc
	s_waitcnt vmcnt(0)
	global_store_dwordx2 v[0:1], v[2:3], off
.LBB69_16:
	s_endpgm
.LBB69_17:
	s_branch .LBB69_15
	.section	.rodata,"a",@progbits
	.p2align	6, 0x0
	.amdhsa_kernel _ZN9rocsolver6v33100L8copy_matI19rocblas_complex_numIdEdLb0EPS3_TnNSt9enable_ifIX18rocblas_is_complexIT_EEiE4typeELi0EEEvNS0_17copymat_directionEiiT2_iilPT0_13rocblas_fill_17rocblas_diagonal_
		.amdhsa_group_segment_fixed_size 0
		.amdhsa_private_segment_fixed_size 0
		.amdhsa_kernarg_size 312
		.amdhsa_user_sgpr_count 6
		.amdhsa_user_sgpr_private_segment_buffer 1
		.amdhsa_user_sgpr_dispatch_ptr 0
		.amdhsa_user_sgpr_queue_ptr 0
		.amdhsa_user_sgpr_kernarg_segment_ptr 1
		.amdhsa_user_sgpr_dispatch_id 0
		.amdhsa_user_sgpr_flat_scratch_init 0
		.amdhsa_user_sgpr_kernarg_preload_length 0
		.amdhsa_user_sgpr_kernarg_preload_offset 0
		.amdhsa_user_sgpr_private_segment_size 0
		.amdhsa_uses_dynamic_stack 0
		.amdhsa_system_sgpr_private_segment_wavefront_offset 0
		.amdhsa_system_sgpr_workgroup_id_x 1
		.amdhsa_system_sgpr_workgroup_id_y 1
		.amdhsa_system_sgpr_workgroup_id_z 1
		.amdhsa_system_sgpr_workgroup_info 0
		.amdhsa_system_vgpr_workitem_id 1
		.amdhsa_next_free_vgpr 8
		.amdhsa_next_free_sgpr 24
		.amdhsa_accum_offset 8
		.amdhsa_reserve_vcc 1
		.amdhsa_reserve_flat_scratch 0
		.amdhsa_float_round_mode_32 0
		.amdhsa_float_round_mode_16_64 0
		.amdhsa_float_denorm_mode_32 3
		.amdhsa_float_denorm_mode_16_64 3
		.amdhsa_dx10_clamp 1
		.amdhsa_ieee_mode 1
		.amdhsa_fp16_overflow 0
		.amdhsa_tg_split 0
		.amdhsa_exception_fp_ieee_invalid_op 0
		.amdhsa_exception_fp_denorm_src 0
		.amdhsa_exception_fp_ieee_div_zero 0
		.amdhsa_exception_fp_ieee_overflow 0
		.amdhsa_exception_fp_ieee_underflow 0
		.amdhsa_exception_fp_ieee_inexact 0
		.amdhsa_exception_int_div_zero 0
	.end_amdhsa_kernel
	.section	.text._ZN9rocsolver6v33100L8copy_matI19rocblas_complex_numIdEdLb0EPS3_TnNSt9enable_ifIX18rocblas_is_complexIT_EEiE4typeELi0EEEvNS0_17copymat_directionEiiT2_iilPT0_13rocblas_fill_17rocblas_diagonal_,"axG",@progbits,_ZN9rocsolver6v33100L8copy_matI19rocblas_complex_numIdEdLb0EPS3_TnNSt9enable_ifIX18rocblas_is_complexIT_EEiE4typeELi0EEEvNS0_17copymat_directionEiiT2_iilPT0_13rocblas_fill_17rocblas_diagonal_,comdat
.Lfunc_end69:
	.size	_ZN9rocsolver6v33100L8copy_matI19rocblas_complex_numIdEdLb0EPS3_TnNSt9enable_ifIX18rocblas_is_complexIT_EEiE4typeELi0EEEvNS0_17copymat_directionEiiT2_iilPT0_13rocblas_fill_17rocblas_diagonal_, .Lfunc_end69-_ZN9rocsolver6v33100L8copy_matI19rocblas_complex_numIdEdLb0EPS3_TnNSt9enable_ifIX18rocblas_is_complexIT_EEiE4typeELi0EEEvNS0_17copymat_directionEiiT2_iilPT0_13rocblas_fill_17rocblas_diagonal_
                                        ; -- End function
	.section	.AMDGPU.csdata,"",@progbits
; Kernel info:
; codeLenInByte = 576
; NumSgprs: 28
; NumVgprs: 8
; NumAgprs: 0
; TotalNumVgprs: 8
; ScratchSize: 0
; MemoryBound: 0
; FloatMode: 240
; IeeeMode: 1
; LDSByteSize: 0 bytes/workgroup (compile time only)
; SGPRBlocks: 3
; VGPRBlocks: 0
; NumSGPRsForWavesPerEU: 28
; NumVGPRsForWavesPerEU: 8
; AccumOffset: 8
; Occupancy: 8
; WaveLimiterHint : 0
; COMPUTE_PGM_RSRC2:SCRATCH_EN: 0
; COMPUTE_PGM_RSRC2:USER_SGPR: 6
; COMPUTE_PGM_RSRC2:TRAP_HANDLER: 0
; COMPUTE_PGM_RSRC2:TGID_X_EN: 1
; COMPUTE_PGM_RSRC2:TGID_Y_EN: 1
; COMPUTE_PGM_RSRC2:TGID_Z_EN: 1
; COMPUTE_PGM_RSRC2:TIDIG_COMP_CNT: 1
; COMPUTE_PGM_RSRC3_GFX90A:ACCUM_OFFSET: 1
; COMPUTE_PGM_RSRC3_GFX90A:TG_SPLIT: 0
	.section	.text._ZN9rocsolver6v33100L8set_zeroI19rocblas_complex_numIdEPS3_EEviiT0_iil13rocblas_fill_,"axG",@progbits,_ZN9rocsolver6v33100L8set_zeroI19rocblas_complex_numIdEPS3_EEviiT0_iil13rocblas_fill_,comdat
	.globl	_ZN9rocsolver6v33100L8set_zeroI19rocblas_complex_numIdEPS3_EEviiT0_iil13rocblas_fill_ ; -- Begin function _ZN9rocsolver6v33100L8set_zeroI19rocblas_complex_numIdEPS3_EEviiT0_iil13rocblas_fill_
	.p2align	8
	.type	_ZN9rocsolver6v33100L8set_zeroI19rocblas_complex_numIdEPS3_EEviiT0_iil13rocblas_fill_,@function
_ZN9rocsolver6v33100L8set_zeroI19rocblas_complex_numIdEPS3_EEviiT0_iil13rocblas_fill_: ; @_ZN9rocsolver6v33100L8set_zeroI19rocblas_complex_numIdEPS3_EEviiT0_iil13rocblas_fill_
; %bb.0:
	s_load_dword s2, s[4:5], 0x34
	s_load_dwordx2 s[0:1], s[4:5], 0x0
	v_and_b32_e32 v1, 0x3ff, v0
	v_bfe_u32 v0, v0, 10, 10
	s_waitcnt lgkmcnt(0)
	s_lshr_b32 s3, s2, 16
	s_and_b32 s2, s2, 0xffff
	s_mul_i32 s6, s6, s2
	s_mul_i32 s7, s7, s3
	v_add_u32_e32 v2, s6, v1
	v_add_u32_e32 v0, s7, v0
	v_cmp_gt_u32_e32 vcc, s0, v2
	v_cmp_gt_u32_e64 s[0:1], s1, v0
	s_and_b64 s[0:1], vcc, s[0:1]
	s_and_saveexec_b64 s[2:3], s[0:1]
	s_cbranch_execz .LBB70_12
; %bb.1:
	s_load_dword s6, s[4:5], 0x20
	s_waitcnt lgkmcnt(0)
	s_cmpk_lt_i32 s6, 0x7a
	s_cbranch_scc1 .LBB70_4
; %bb.2:
	s_cmpk_gt_i32 s6, 0x7a
	s_cbranch_scc0 .LBB70_5
; %bb.3:
	s_cmpk_eq_i32 s6, 0x7b
	s_cselect_b64 s[0:1], -1, 0
	s_cbranch_execz .LBB70_6
	s_branch .LBB70_7
.LBB70_4:
	s_mov_b64 s[0:1], 0
	s_cbranch_execnz .LBB70_8
	s_branch .LBB70_10
.LBB70_5:
	s_mov_b64 s[0:1], 0
.LBB70_6:
	v_cmp_gt_u32_e32 vcc, v0, v2
	s_andn2_b64 s[0:1], s[0:1], exec
	s_and_b64 s[2:3], vcc, exec
	s_or_b64 s[0:1], s[0:1], s[2:3]
.LBB70_7:
	s_branch .LBB70_10
.LBB70_8:
	s_cmpk_eq_i32 s6, 0x79
	s_cbranch_scc0 .LBB70_10
; %bb.9:
	v_cmp_gt_u32_e32 vcc, v2, v0
	s_andn2_b64 s[0:1], s[0:1], exec
	s_and_b64 s[2:3], vcc, exec
	s_or_b64 s[0:1], s[0:1], s[2:3]
.LBB70_10:
	s_and_b64 exec, exec, s[0:1]
	s_cbranch_execz .LBB70_12
; %bb.11:
	s_load_dwordx4 s[0:3], s[4:5], 0x8
	s_load_dwordx2 s[6:7], s[4:5], 0x18
	s_waitcnt lgkmcnt(0)
	s_ashr_i32 s5, s2, 31
	s_mov_b32 s4, s2
	s_mul_i32 s2, s8, s7
	s_mul_hi_u32 s7, s8, s6
	s_add_i32 s7, s7, s2
	s_mul_i32 s6, s8, s6
	s_lshl_b64 s[6:7], s[6:7], 4
	s_add_u32 s2, s0, s6
	s_addc_u32 s6, s1, s7
	s_lshl_b64 s[0:1], s[4:5], 4
	s_add_u32 s2, s2, s0
	s_addc_u32 s4, s6, s1
	v_mad_u64_u32 v[0:1], s[0:1], v0, s3, v[2:3]
	v_mov_b32_e32 v1, 0
	v_lshlrev_b64 v[2:3], 4, v[0:1]
	v_mov_b32_e32 v0, s4
	v_add_co_u32_e32 v4, vcc, s2, v2
	v_addc_co_u32_e32 v5, vcc, v0, v3, vcc
	v_mov_b32_e32 v0, v1
	v_mov_b32_e32 v2, v1
	;; [unrolled: 1-line block ×3, first 2 shown]
	global_store_dwordx4 v[4:5], v[0:3], off
.LBB70_12:
	s_endpgm
	.section	.rodata,"a",@progbits
	.p2align	6, 0x0
	.amdhsa_kernel _ZN9rocsolver6v33100L8set_zeroI19rocblas_complex_numIdEPS3_EEviiT0_iil13rocblas_fill_
		.amdhsa_group_segment_fixed_size 0
		.amdhsa_private_segment_fixed_size 0
		.amdhsa_kernarg_size 296
		.amdhsa_user_sgpr_count 6
		.amdhsa_user_sgpr_private_segment_buffer 1
		.amdhsa_user_sgpr_dispatch_ptr 0
		.amdhsa_user_sgpr_queue_ptr 0
		.amdhsa_user_sgpr_kernarg_segment_ptr 1
		.amdhsa_user_sgpr_dispatch_id 0
		.amdhsa_user_sgpr_flat_scratch_init 0
		.amdhsa_user_sgpr_kernarg_preload_length 0
		.amdhsa_user_sgpr_kernarg_preload_offset 0
		.amdhsa_user_sgpr_private_segment_size 0
		.amdhsa_uses_dynamic_stack 0
		.amdhsa_system_sgpr_private_segment_wavefront_offset 0
		.amdhsa_system_sgpr_workgroup_id_x 1
		.amdhsa_system_sgpr_workgroup_id_y 1
		.amdhsa_system_sgpr_workgroup_id_z 1
		.amdhsa_system_sgpr_workgroup_info 0
		.amdhsa_system_vgpr_workitem_id 1
		.amdhsa_next_free_vgpr 6
		.amdhsa_next_free_sgpr 9
		.amdhsa_accum_offset 8
		.amdhsa_reserve_vcc 1
		.amdhsa_reserve_flat_scratch 0
		.amdhsa_float_round_mode_32 0
		.amdhsa_float_round_mode_16_64 0
		.amdhsa_float_denorm_mode_32 3
		.amdhsa_float_denorm_mode_16_64 3
		.amdhsa_dx10_clamp 1
		.amdhsa_ieee_mode 1
		.amdhsa_fp16_overflow 0
		.amdhsa_tg_split 0
		.amdhsa_exception_fp_ieee_invalid_op 0
		.amdhsa_exception_fp_denorm_src 0
		.amdhsa_exception_fp_ieee_div_zero 0
		.amdhsa_exception_fp_ieee_overflow 0
		.amdhsa_exception_fp_ieee_underflow 0
		.amdhsa_exception_fp_ieee_inexact 0
		.amdhsa_exception_int_div_zero 0
	.end_amdhsa_kernel
	.section	.text._ZN9rocsolver6v33100L8set_zeroI19rocblas_complex_numIdEPS3_EEviiT0_iil13rocblas_fill_,"axG",@progbits,_ZN9rocsolver6v33100L8set_zeroI19rocblas_complex_numIdEPS3_EEviiT0_iil13rocblas_fill_,comdat
.Lfunc_end70:
	.size	_ZN9rocsolver6v33100L8set_zeroI19rocblas_complex_numIdEPS3_EEviiT0_iil13rocblas_fill_, .Lfunc_end70-_ZN9rocsolver6v33100L8set_zeroI19rocblas_complex_numIdEPS3_EEviiT0_iil13rocblas_fill_
                                        ; -- End function
	.section	.AMDGPU.csdata,"",@progbits
; Kernel info:
; codeLenInByte = 324
; NumSgprs: 13
; NumVgprs: 6
; NumAgprs: 0
; TotalNumVgprs: 6
; ScratchSize: 0
; MemoryBound: 0
; FloatMode: 240
; IeeeMode: 1
; LDSByteSize: 0 bytes/workgroup (compile time only)
; SGPRBlocks: 1
; VGPRBlocks: 0
; NumSGPRsForWavesPerEU: 13
; NumVGPRsForWavesPerEU: 6
; AccumOffset: 8
; Occupancy: 8
; WaveLimiterHint : 0
; COMPUTE_PGM_RSRC2:SCRATCH_EN: 0
; COMPUTE_PGM_RSRC2:USER_SGPR: 6
; COMPUTE_PGM_RSRC2:TRAP_HANDLER: 0
; COMPUTE_PGM_RSRC2:TGID_X_EN: 1
; COMPUTE_PGM_RSRC2:TGID_Y_EN: 1
; COMPUTE_PGM_RSRC2:TGID_Z_EN: 1
; COMPUTE_PGM_RSRC2:TIDIG_COMP_CNT: 1
; COMPUTE_PGM_RSRC3_GFX90A:ACCUM_OFFSET: 1
; COMPUTE_PGM_RSRC3_GFX90A:TG_SPLIT: 0
	.section	.text._ZN9rocsolver6v33100L8copy_matI19rocblas_complex_numIdEdLb1EPS3_TnNSt9enable_ifIX18rocblas_is_complexIT_EEiE4typeELi0EEEvNS0_17copymat_directionEiiT2_iilPT0_13rocblas_fill_17rocblas_diagonal_,"axG",@progbits,_ZN9rocsolver6v33100L8copy_matI19rocblas_complex_numIdEdLb1EPS3_TnNSt9enable_ifIX18rocblas_is_complexIT_EEiE4typeELi0EEEvNS0_17copymat_directionEiiT2_iilPT0_13rocblas_fill_17rocblas_diagonal_,comdat
	.globl	_ZN9rocsolver6v33100L8copy_matI19rocblas_complex_numIdEdLb1EPS3_TnNSt9enable_ifIX18rocblas_is_complexIT_EEiE4typeELi0EEEvNS0_17copymat_directionEiiT2_iilPT0_13rocblas_fill_17rocblas_diagonal_ ; -- Begin function _ZN9rocsolver6v33100L8copy_matI19rocblas_complex_numIdEdLb1EPS3_TnNSt9enable_ifIX18rocblas_is_complexIT_EEiE4typeELi0EEEvNS0_17copymat_directionEiiT2_iilPT0_13rocblas_fill_17rocblas_diagonal_
	.p2align	8
	.type	_ZN9rocsolver6v33100L8copy_matI19rocblas_complex_numIdEdLb1EPS3_TnNSt9enable_ifIX18rocblas_is_complexIT_EEiE4typeELi0EEEvNS0_17copymat_directionEiiT2_iilPT0_13rocblas_fill_17rocblas_diagonal_,@function
_ZN9rocsolver6v33100L8copy_matI19rocblas_complex_numIdEdLb1EPS3_TnNSt9enable_ifIX18rocblas_is_complexIT_EEiE4typeELi0EEEvNS0_17copymat_directionEiiT2_iilPT0_13rocblas_fill_17rocblas_diagonal_: ; @_ZN9rocsolver6v33100L8copy_matI19rocblas_complex_numIdEdLb1EPS3_TnNSt9enable_ifIX18rocblas_is_complexIT_EEiE4typeELi0EEEvNS0_17copymat_directionEiiT2_iilPT0_13rocblas_fill_17rocblas_diagonal_
; %bb.0:
	s_load_dwordx4 s[12:15], s[4:5], 0x0
	s_load_dword s0, s[4:5], 0x44
	v_bfe_u32 v1, v0, 10, 10
	v_and_b32_e32 v0, 0x3ff, v0
	s_waitcnt lgkmcnt(0)
	s_lshr_b32 s1, s0, 16
	s_and_b32 s0, s0, 0xffff
	s_mul_i32 s7, s7, s1
	s_mul_i32 s6, s6, s0
	v_add_u32_e32 v1, s7, v1
	v_add_u32_e32 v0, s6, v0
	v_cmp_gt_u32_e32 vcc, s13, v0
	v_cmp_gt_u32_e64 s[0:1], s14, v1
	s_and_b64 s[0:1], s[0:1], vcc
	s_and_saveexec_b64 s[2:3], s[0:1]
	s_cbranch_execz .LBB71_16
; %bb.1:
	s_load_dwordx2 s[2:3], s[4:5], 0x30
	s_mov_b32 s9, s13
	s_waitcnt lgkmcnt(0)
	s_cmpk_lt_i32 s2, 0x7a
	s_cbranch_scc1 .LBB71_4
; %bb.2:
	s_cmpk_gt_i32 s2, 0x7a
	s_cbranch_scc0 .LBB71_5
; %bb.3:
	s_cmpk_lg_i32 s2, 0x7b
	s_mov_b64 s[6:7], -1
	s_cselect_b64 s[10:11], -1, 0
	s_cbranch_execz .LBB71_6
	s_branch .LBB71_7
.LBB71_4:
	s_mov_b64 s[10:11], 0
	s_mov_b64 s[6:7], 0
	s_cbranch_execnz .LBB71_8
	s_branch .LBB71_10
.LBB71_5:
	s_mov_b64 s[6:7], 0
	s_mov_b64 s[10:11], 0
.LBB71_6:
	v_cmp_gt_u32_e32 vcc, v0, v1
	v_cmp_le_u32_e64 s[0:1], v0, v1
	s_andn2_b64 s[6:7], s[6:7], exec
	s_and_b64 s[16:17], vcc, exec
	s_andn2_b64 s[10:11], s[10:11], exec
	s_and_b64 s[0:1], s[0:1], exec
	s_or_b64 s[6:7], s[6:7], s[16:17]
	s_or_b64 s[10:11], s[10:11], s[0:1]
.LBB71_7:
	s_branch .LBB71_10
.LBB71_8:
	s_cmpk_eq_i32 s2, 0x79
	s_mov_b64 s[10:11], -1
	s_cbranch_scc0 .LBB71_10
; %bb.9:
	v_cmp_gt_u32_e32 vcc, v1, v0
	v_cmp_le_u32_e64 s[0:1], v1, v0
	s_andn2_b64 s[6:7], s[6:7], exec
	s_and_b64 s[10:11], vcc, exec
	s_or_b64 s[6:7], s[6:7], s[10:11]
	s_orn2_b64 s[10:11], s[0:1], exec
.LBB71_10:
	s_and_saveexec_b64 s[0:1], s[10:11]
; %bb.11:
	s_cmpk_eq_i32 s3, 0x83
	s_cselect_b64 s[2:3], -1, 0
	v_cmp_eq_u32_e32 vcc, v0, v1
	s_and_b64 s[2:3], s[2:3], vcc
	s_andn2_b64 s[6:7], s[6:7], exec
	s_and_b64 s[2:3], s[2:3], exec
	s_or_b64 s[6:7], s[6:7], s[2:3]
; %bb.12:
	s_or_b64 exec, exec, s[0:1]
	s_and_b64 exec, exec, s[6:7]
	s_cbranch_execz .LBB71_16
; %bb.13:
	s_load_dwordx8 s[0:7], s[4:5], 0x10
	s_ashr_i32 s15, s13, 31
	s_ashr_i32 s16, s14, 31
	s_mul_i32 s15, s15, s8
	s_waitcnt lgkmcnt(0)
	s_ashr_i32 s11, s2, 31
	s_mov_b32 s10, s2
	s_mul_i32 s2, s8, s5
	s_mul_hi_u32 s5, s8, s4
	s_add_i32 s5, s5, s2
	s_mul_i32 s4, s8, s4
	s_lshl_b64 s[4:5], s[4:5], 4
	s_add_u32 s2, s0, s4
	s_addc_u32 s4, s1, s5
	s_lshl_b64 s[0:1], s[10:11], 4
	s_add_u32 s2, s2, s0
	s_mul_hi_u32 s0, s13, s8
	s_mul_i32 s5, s13, s8
	s_addc_u32 s4, s4, s1
	s_add_i32 s0, s0, s15
	s_mul_i32 s1, s5, s16
	s_mul_hi_u32 s8, s5, s14
	s_add_i32 s1, s8, s1
	s_mul_i32 s0, s0, s14
	s_add_i32 s1, s1, s0
	s_mul_i32 s0, s5, s14
	s_lshl_b64 s[0:1], s[0:1], 3
	s_add_u32 s5, s6, s0
	s_addc_u32 s6, s7, s1
	s_cmp_lg_u32 s12, 0
	s_cbranch_scc0 .LBB71_17
; %bb.14:
	v_mad_u64_u32 v[2:3], s[0:1], v1, s9, v[0:1]
	v_mov_b32_e32 v3, 0
	v_lshlrev_b64 v[4:5], 3, v[2:3]
	v_mov_b32_e32 v2, s6
	v_add_co_u32_e32 v4, vcc, s5, v4
	v_addc_co_u32_e32 v5, vcc, v2, v5, vcc
	global_load_dwordx2 v[4:5], v[4:5], off
	v_mad_u64_u32 v[6:7], s[0:1], v1, s3, v[0:1]
	v_mov_b32_e32 v7, v3
	v_lshlrev_b64 v[2:3], 4, v[6:7]
	v_mov_b32_e32 v8, s4
	v_add_co_u32_e32 v2, vcc, s2, v2
	v_addc_co_u32_e32 v3, vcc, v8, v3, vcc
	s_waitcnt vmcnt(0)
	global_store_dwordx2 v[2:3], v[4:5], off
	s_cbranch_execnz .LBB71_16
.LBB71_15:
	v_mad_u64_u32 v[2:3], s[0:1], v1, s3, v[0:1]
	v_mov_b32_e32 v3, 0
	v_lshlrev_b64 v[4:5], 4, v[2:3]
	v_mov_b32_e32 v2, s4
	v_add_co_u32_e32 v4, vcc, s2, v4
	v_addc_co_u32_e32 v5, vcc, v2, v5, vcc
	global_load_dwordx2 v[4:5], v[4:5], off
	v_mad_u64_u32 v[0:1], s[0:1], v1, s9, v[0:1]
	v_mov_b32_e32 v1, v3
	v_lshlrev_b64 v[0:1], 3, v[0:1]
	v_mov_b32_e32 v2, s6
	v_add_co_u32_e32 v0, vcc, s5, v0
	v_addc_co_u32_e32 v1, vcc, v2, v1, vcc
	s_waitcnt vmcnt(0)
	global_store_dwordx2 v[0:1], v[4:5], off
.LBB71_16:
	s_endpgm
.LBB71_17:
	s_branch .LBB71_15
	.section	.rodata,"a",@progbits
	.p2align	6, 0x0
	.amdhsa_kernel _ZN9rocsolver6v33100L8copy_matI19rocblas_complex_numIdEdLb1EPS3_TnNSt9enable_ifIX18rocblas_is_complexIT_EEiE4typeELi0EEEvNS0_17copymat_directionEiiT2_iilPT0_13rocblas_fill_17rocblas_diagonal_
		.amdhsa_group_segment_fixed_size 0
		.amdhsa_private_segment_fixed_size 0
		.amdhsa_kernarg_size 312
		.amdhsa_user_sgpr_count 6
		.amdhsa_user_sgpr_private_segment_buffer 1
		.amdhsa_user_sgpr_dispatch_ptr 0
		.amdhsa_user_sgpr_queue_ptr 0
		.amdhsa_user_sgpr_kernarg_segment_ptr 1
		.amdhsa_user_sgpr_dispatch_id 0
		.amdhsa_user_sgpr_flat_scratch_init 0
		.amdhsa_user_sgpr_kernarg_preload_length 0
		.amdhsa_user_sgpr_kernarg_preload_offset 0
		.amdhsa_user_sgpr_private_segment_size 0
		.amdhsa_uses_dynamic_stack 0
		.amdhsa_system_sgpr_private_segment_wavefront_offset 0
		.amdhsa_system_sgpr_workgroup_id_x 1
		.amdhsa_system_sgpr_workgroup_id_y 1
		.amdhsa_system_sgpr_workgroup_id_z 1
		.amdhsa_system_sgpr_workgroup_info 0
		.amdhsa_system_vgpr_workitem_id 1
		.amdhsa_next_free_vgpr 9
		.amdhsa_next_free_sgpr 18
		.amdhsa_accum_offset 12
		.amdhsa_reserve_vcc 1
		.amdhsa_reserve_flat_scratch 0
		.amdhsa_float_round_mode_32 0
		.amdhsa_float_round_mode_16_64 0
		.amdhsa_float_denorm_mode_32 3
		.amdhsa_float_denorm_mode_16_64 3
		.amdhsa_dx10_clamp 1
		.amdhsa_ieee_mode 1
		.amdhsa_fp16_overflow 0
		.amdhsa_tg_split 0
		.amdhsa_exception_fp_ieee_invalid_op 0
		.amdhsa_exception_fp_denorm_src 0
		.amdhsa_exception_fp_ieee_div_zero 0
		.amdhsa_exception_fp_ieee_overflow 0
		.amdhsa_exception_fp_ieee_underflow 0
		.amdhsa_exception_fp_ieee_inexact 0
		.amdhsa_exception_int_div_zero 0
	.end_amdhsa_kernel
	.section	.text._ZN9rocsolver6v33100L8copy_matI19rocblas_complex_numIdEdLb1EPS3_TnNSt9enable_ifIX18rocblas_is_complexIT_EEiE4typeELi0EEEvNS0_17copymat_directionEiiT2_iilPT0_13rocblas_fill_17rocblas_diagonal_,"axG",@progbits,_ZN9rocsolver6v33100L8copy_matI19rocblas_complex_numIdEdLb1EPS3_TnNSt9enable_ifIX18rocblas_is_complexIT_EEiE4typeELi0EEEvNS0_17copymat_directionEiiT2_iilPT0_13rocblas_fill_17rocblas_diagonal_,comdat
.Lfunc_end71:
	.size	_ZN9rocsolver6v33100L8copy_matI19rocblas_complex_numIdEdLb1EPS3_TnNSt9enable_ifIX18rocblas_is_complexIT_EEiE4typeELi0EEEvNS0_17copymat_directionEiiT2_iilPT0_13rocblas_fill_17rocblas_diagonal_, .Lfunc_end71-_ZN9rocsolver6v33100L8copy_matI19rocblas_complex_numIdEdLb1EPS3_TnNSt9enable_ifIX18rocblas_is_complexIT_EEiE4typeELi0EEEvNS0_17copymat_directionEiiT2_iilPT0_13rocblas_fill_17rocblas_diagonal_
                                        ; -- End function
	.section	.AMDGPU.csdata,"",@progbits
; Kernel info:
; codeLenInByte = 596
; NumSgprs: 22
; NumVgprs: 9
; NumAgprs: 0
; TotalNumVgprs: 9
; ScratchSize: 0
; MemoryBound: 0
; FloatMode: 240
; IeeeMode: 1
; LDSByteSize: 0 bytes/workgroup (compile time only)
; SGPRBlocks: 2
; VGPRBlocks: 1
; NumSGPRsForWavesPerEU: 22
; NumVGPRsForWavesPerEU: 9
; AccumOffset: 12
; Occupancy: 8
; WaveLimiterHint : 0
; COMPUTE_PGM_RSRC2:SCRATCH_EN: 0
; COMPUTE_PGM_RSRC2:USER_SGPR: 6
; COMPUTE_PGM_RSRC2:TRAP_HANDLER: 0
; COMPUTE_PGM_RSRC2:TGID_X_EN: 1
; COMPUTE_PGM_RSRC2:TGID_Y_EN: 1
; COMPUTE_PGM_RSRC2:TGID_Z_EN: 1
; COMPUTE_PGM_RSRC2:TIDIG_COMP_CNT: 1
; COMPUTE_PGM_RSRC3_GFX90A:ACCUM_OFFSET: 2
; COMPUTE_PGM_RSRC3_GFX90A:TG_SPLIT: 0
	.section	.text._ZN9rocsolver6v33100L11stedc_copyCI19rocblas_complex_numIdEPS3_S4_EEviT0_iilT1_iil,"axG",@progbits,_ZN9rocsolver6v33100L11stedc_copyCI19rocblas_complex_numIdEPS3_S4_EEviT0_iilT1_iil,comdat
	.globl	_ZN9rocsolver6v33100L11stedc_copyCI19rocblas_complex_numIdEPS3_S4_EEviT0_iilT1_iil ; -- Begin function _ZN9rocsolver6v33100L11stedc_copyCI19rocblas_complex_numIdEPS3_S4_EEviT0_iilT1_iil
	.p2align	8
	.type	_ZN9rocsolver6v33100L11stedc_copyCI19rocblas_complex_numIdEPS3_S4_EEviT0_iilT1_iil,@function
_ZN9rocsolver6v33100L11stedc_copyCI19rocblas_complex_numIdEPS3_S4_EEviT0_iilT1_iil: ; @_ZN9rocsolver6v33100L11stedc_copyCI19rocblas_complex_numIdEPS3_S4_EEviT0_iilT1_iil
; %bb.0:
	s_load_dword s6, s[4:5], 0x44
	s_load_dword s41, s[4:5], 0x0
	s_add_u32 s0, s0, s10
	s_addc_u32 s1, s1, 0
	s_waitcnt lgkmcnt(0)
	s_and_b32 s33, s6, 0xffff
	s_lshl_b32 s40, s33, 4
	v_cvt_f32_u32_e32 v1, s40
	s_sub_i32 s10, 0, s40
	s_add_i32 s6, s41, -1
	s_ashr_i32 s7, s6, 31
	v_rcp_iflag_f32_e32 v1, v1
	s_abs_i32 s6, s6
	v_mul_f32_e32 v1, 0x4f7ffffe, v1
	v_cvt_u32_f32_e32 v1, v1
	v_readfirstlane_b32 s11, v1
	s_mul_i32 s10, s10, s11
	s_mul_hi_u32 s10, s11, s10
	s_add_i32 s11, s11, s10
	s_mul_hi_u32 s10, s6, s11
	s_mul_i32 s11, s10, s40
	s_sub_i32 s6, s6, s11
	s_add_i32 s12, s10, 1
	s_sub_i32 s11, s6, s40
	s_cmp_ge_u32 s6, s40
	s_cselect_b32 s10, s12, s10
	s_cselect_b32 s6, s11, s6
	s_add_i32 s11, s10, 1
	s_cmp_ge_u32 s6, s40
	s_cselect_b32 s6, s11, s10
	s_xor_b32 s6, s6, s7
	s_sub_i32 s6, s6, s7
	s_cmp_lt_i32 s6, 0
	s_cbranch_scc1 .LBB72_67
; %bb.1:
	s_load_dwordx8 s[12:19], s[4:5], 0x8
	s_load_dwordx4 s[20:23], s[4:5], 0x28
	s_ashr_i32 s7, s9, 31
	v_mov_b32_e32 v1, 0
	v_add_u32_e32 v32, 16, v1
	s_waitcnt lgkmcnt(0)
	s_mul_i32 s10, s9, s17
	s_mul_hi_u32 s11, s9, s16
	s_add_i32 s10, s11, s10
	s_mul_i32 s11, s7, s16
	s_add_i32 s11, s10, s11
	s_mul_i32 s10, s9, s16
	s_ashr_i32 s5, s14, 31
	s_lshl_b64 s[10:11], s[10:11], 4
	s_mov_b32 s4, s14
	s_add_u32 s10, s12, s10
	s_addc_u32 s11, s13, s11
	s_lshl_b64 s[4:5], s[4:5], 4
	s_add_u32 s12, s10, s4
	s_addc_u32 s13, s11, s5
	s_mul_i32 s10, s9, s23
	s_mul_hi_u32 s11, s9, s22
	s_add_i32 s10, s11, s10
	s_mul_i32 s7, s7, s22
	s_add_i32 s11, s10, s7
	s_mul_i32 s10, s9, s22
	s_ashr_i32 s5, s20, 31
	s_lshl_b64 s[10:11], s[10:11], 4
	s_mov_b32 s4, s20
	s_add_u32 s7, s18, s10
	s_addc_u32 s9, s19, s11
	s_lshl_b64 s[4:5], s[4:5], 4
	s_add_u32 s7, s7, s4
	s_mul_i32 s4, s8, s15
	s_addc_u32 s9, s9, s5
	s_ashr_i32 s5, s4, 31
	s_lshl_b64 s[4:5], s[4:5], 4
	s_add_u32 s42, s12, s4
	s_mul_i32 s4, s8, s21
	s_addc_u32 s43, s13, s5
	s_ashr_i32 s5, s4, 31
	s_lshl_b64 s[4:5], s[4:5], 4
	s_add_u32 s44, s7, s4
	s_addc_u32 s45, s9, s5
	v_add_u32_e32 v33, 32, v1
	v_add_u32_e32 v34, 48, v1
	;; [unrolled: 1-line block ×14, first 2 shown]
	s_add_i32 s46, s6, 1
	s_lshl_b32 s47, s33, 1
	s_mul_i32 s48, s33, 3
	s_lshl_b32 s49, s33, 2
	s_mul_i32 s50, s33, 5
	s_mul_i32 s51, s33, 6
	;; [unrolled: 1-line block ×3, first 2 shown]
	s_lshl_b32 s53, s33, 3
	s_mul_i32 s54, s33, 9
	s_mul_i32 s55, s33, 10
	;; [unrolled: 1-line block ×7, first 2 shown]
	s_branch .LBB72_3
.LBB72_2:                               ;   in Loop: Header=BB72_3 Depth=1
	s_or_b64 exec, exec, s[4:5]
	s_add_i32 s46, s46, -1
	s_cmp_eq_u32 s46, 0
	v_add_u32_e32 v0, s40, v0
	s_cbranch_scc1 .LBB72_67
.LBB72_3:                               ; =>This Inner Loop Header: Depth=1
	v_cmp_gt_i32_e64 s[34:35], s41, v0
	v_ashrrev_i32_e32 v1, 31, v0
	s_and_saveexec_b64 s[4:5], s[34:35]
	s_cbranch_execz .LBB72_5
; %bb.4:                                ;   in Loop: Header=BB72_3 Depth=1
	v_lshlrev_b64 v[2:3], 4, v[0:1]
	v_mov_b32_e32 v4, s43
	v_add_co_u32_e32 v2, vcc, s42, v2
	v_addc_co_u32_e32 v3, vcc, v4, v3, vcc
	global_load_dwordx4 v[2:5], v[2:3], off
	s_waitcnt vmcnt(0)
	buffer_store_dword v5, off, s[0:3], 0 offset:12
	buffer_store_dword v4, off, s[0:3], 0 offset:8
	;; [unrolled: 1-line block ×3, first 2 shown]
	buffer_store_dword v2, off, s[0:3], 0
.LBB72_5:                               ;   in Loop: Header=BB72_3 Depth=1
	s_or_b64 exec, exec, s[4:5]
	v_add_u32_e32 v30, s33, v0
	v_cmp_gt_i32_e64 s[30:31], s41, v30
	v_ashrrev_i32_e32 v31, 31, v30
	s_and_saveexec_b64 s[4:5], s[30:31]
	s_cbranch_execz .LBB72_7
; %bb.6:                                ;   in Loop: Header=BB72_3 Depth=1
	v_lshlrev_b64 v[2:3], 4, v[30:31]
	v_mov_b32_e32 v4, s43
	v_add_co_u32_e32 v2, vcc, s42, v2
	v_addc_co_u32_e32 v3, vcc, v4, v3, vcc
	global_load_dwordx4 v[2:5], v[2:3], off
	s_waitcnt vmcnt(0)
	buffer_store_dword v5, v32, s[0:3], 0 offen offset:12
	buffer_store_dword v4, v32, s[0:3], 0 offen offset:8
	;; [unrolled: 1-line block ×3, first 2 shown]
	buffer_store_dword v2, v32, s[0:3], 0 offen
.LBB72_7:                               ;   in Loop: Header=BB72_3 Depth=1
	s_or_b64 exec, exec, s[4:5]
	v_add_u32_e32 v28, s47, v0
	v_add_u32_e32 v2, s33, v30
	v_cmp_gt_i32_e64 s[28:29], s41, v2
	v_ashrrev_i32_e32 v29, 31, v28
	s_and_saveexec_b64 s[4:5], s[28:29]
	s_cbranch_execz .LBB72_9
; %bb.8:                                ;   in Loop: Header=BB72_3 Depth=1
	v_lshlrev_b64 v[4:5], 4, v[28:29]
	v_mov_b32_e32 v3, s43
	v_add_co_u32_e32 v4, vcc, s42, v4
	v_addc_co_u32_e32 v5, vcc, v3, v5, vcc
	global_load_dwordx4 v[4:7], v[4:5], off
	s_waitcnt vmcnt(0)
	buffer_store_dword v7, v33, s[0:3], 0 offen offset:12
	buffer_store_dword v6, v33, s[0:3], 0 offen offset:8
	;; [unrolled: 1-line block ×3, first 2 shown]
	buffer_store_dword v4, v33, s[0:3], 0 offen
.LBB72_9:                               ;   in Loop: Header=BB72_3 Depth=1
	s_or_b64 exec, exec, s[4:5]
	v_add_u32_e32 v26, s48, v0
	v_add_u32_e32 v2, s33, v2
	v_cmp_gt_i32_e64 s[26:27], s41, v2
	v_ashrrev_i32_e32 v27, 31, v26
	s_and_saveexec_b64 s[4:5], s[26:27]
	s_cbranch_execz .LBB72_11
; %bb.10:                               ;   in Loop: Header=BB72_3 Depth=1
	v_lshlrev_b64 v[4:5], 4, v[26:27]
	v_mov_b32_e32 v3, s43
	v_add_co_u32_e32 v4, vcc, s42, v4
	v_addc_co_u32_e32 v5, vcc, v3, v5, vcc
	global_load_dwordx4 v[4:7], v[4:5], off
	s_waitcnt vmcnt(0)
	buffer_store_dword v7, v34, s[0:3], 0 offen offset:12
	buffer_store_dword v6, v34, s[0:3], 0 offen offset:8
	buffer_store_dword v5, v34, s[0:3], 0 offen offset:4
	buffer_store_dword v4, v34, s[0:3], 0 offen
.LBB72_11:                              ;   in Loop: Header=BB72_3 Depth=1
	s_or_b64 exec, exec, s[4:5]
	v_add_u32_e32 v24, s49, v0
	v_add_u32_e32 v2, s33, v2
	v_cmp_gt_i32_e64 s[24:25], s41, v2
	v_ashrrev_i32_e32 v25, 31, v24
	s_and_saveexec_b64 s[4:5], s[24:25]
	s_cbranch_execz .LBB72_13
; %bb.12:                               ;   in Loop: Header=BB72_3 Depth=1
	v_lshlrev_b64 v[4:5], 4, v[24:25]
	v_mov_b32_e32 v3, s43
	v_add_co_u32_e32 v4, vcc, s42, v4
	v_addc_co_u32_e32 v5, vcc, v3, v5, vcc
	global_load_dwordx4 v[4:7], v[4:5], off
	s_waitcnt vmcnt(0)
	buffer_store_dword v7, v35, s[0:3], 0 offen offset:12
	buffer_store_dword v6, v35, s[0:3], 0 offen offset:8
	buffer_store_dword v5, v35, s[0:3], 0 offen offset:4
	buffer_store_dword v4, v35, s[0:3], 0 offen
.LBB72_13:                              ;   in Loop: Header=BB72_3 Depth=1
	;; [unrolled: 19-line block ×12, first 2 shown]
	s_or_b64 exec, exec, s[36:37]
	v_add_u32_e32 v2, s60, v0
	v_add_u32_e32 v3, s33, v3
	v_cmp_gt_i32_e32 vcc, s41, v3
	v_ashrrev_i32_e32 v3, 31, v2
	s_and_saveexec_b64 s[38:39], vcc
	s_cbranch_execnz .LBB72_50
; %bb.34:                               ;   in Loop: Header=BB72_3 Depth=1
	s_or_b64 exec, exec, s[38:39]
	s_and_saveexec_b64 s[36:37], s[34:35]
	s_cbranch_execnz .LBB72_51
.LBB72_35:                              ;   in Loop: Header=BB72_3 Depth=1
	s_or_b64 exec, exec, s[36:37]
	s_and_saveexec_b64 s[34:35], s[30:31]
	s_cbranch_execnz .LBB72_52
.LBB72_36:                              ;   in Loop: Header=BB72_3 Depth=1
	s_or_b64 exec, exec, s[34:35]
	s_and_saveexec_b64 s[30:31], s[28:29]
	s_cbranch_execnz .LBB72_53
.LBB72_37:                              ;   in Loop: Header=BB72_3 Depth=1
	s_or_b64 exec, exec, s[30:31]
	s_and_saveexec_b64 s[28:29], s[26:27]
	s_cbranch_execnz .LBB72_54
.LBB72_38:                              ;   in Loop: Header=BB72_3 Depth=1
	s_or_b64 exec, exec, s[28:29]
	s_and_saveexec_b64 s[26:27], s[24:25]
	s_cbranch_execnz .LBB72_55
.LBB72_39:                              ;   in Loop: Header=BB72_3 Depth=1
	s_or_b64 exec, exec, s[26:27]
	s_and_saveexec_b64 s[24:25], s[22:23]
	s_cbranch_execnz .LBB72_56
.LBB72_40:                              ;   in Loop: Header=BB72_3 Depth=1
	s_or_b64 exec, exec, s[24:25]
	s_and_saveexec_b64 s[22:23], s[20:21]
	s_cbranch_execnz .LBB72_57
.LBB72_41:                              ;   in Loop: Header=BB72_3 Depth=1
	s_or_b64 exec, exec, s[22:23]
	s_and_saveexec_b64 s[20:21], s[18:19]
	s_cbranch_execnz .LBB72_58
.LBB72_42:                              ;   in Loop: Header=BB72_3 Depth=1
	s_or_b64 exec, exec, s[20:21]
	s_and_saveexec_b64 s[18:19], s[16:17]
	s_cbranch_execnz .LBB72_59
.LBB72_43:                              ;   in Loop: Header=BB72_3 Depth=1
	s_or_b64 exec, exec, s[18:19]
	s_and_saveexec_b64 s[16:17], s[14:15]
	s_cbranch_execnz .LBB72_60
.LBB72_44:                              ;   in Loop: Header=BB72_3 Depth=1
	s_or_b64 exec, exec, s[16:17]
	s_and_saveexec_b64 s[14:15], s[12:13]
	s_cbranch_execnz .LBB72_61
.LBB72_45:                              ;   in Loop: Header=BB72_3 Depth=1
	s_or_b64 exec, exec, s[14:15]
	s_and_saveexec_b64 s[12:13], s[10:11]
	s_cbranch_execnz .LBB72_62
.LBB72_46:                              ;   in Loop: Header=BB72_3 Depth=1
	s_or_b64 exec, exec, s[12:13]
	s_and_saveexec_b64 s[10:11], s[8:9]
	s_cbranch_execnz .LBB72_63
.LBB72_47:                              ;   in Loop: Header=BB72_3 Depth=1
	s_or_b64 exec, exec, s[10:11]
	s_and_saveexec_b64 s[8:9], s[6:7]
	s_cbranch_execnz .LBB72_64
.LBB72_48:                              ;   in Loop: Header=BB72_3 Depth=1
	s_or_b64 exec, exec, s[8:9]
	s_and_saveexec_b64 s[6:7], s[4:5]
	s_cbranch_execnz .LBB72_65
.LBB72_49:                              ;   in Loop: Header=BB72_3 Depth=1
	s_or_b64 exec, exec, s[6:7]
	s_and_saveexec_b64 s[4:5], vcc
	s_cbranch_execz .LBB72_2
	s_branch .LBB72_66
.LBB72_50:                              ;   in Loop: Header=BB72_3 Depth=1
	v_lshlrev_b64 v[48:49], 4, v[2:3]
	v_mov_b32_e32 v47, s43
	v_add_co_u32_e64 v48, s[36:37], s42, v48
	v_addc_co_u32_e64 v49, s[36:37], v47, v49, s[36:37]
	global_load_dwordx4 v[48:51], v[48:49], off
	s_waitcnt vmcnt(0)
	buffer_store_dword v51, v46, s[0:3], 0 offen offset:12
	buffer_store_dword v50, v46, s[0:3], 0 offen offset:8
	;; [unrolled: 1-line block ×3, first 2 shown]
	buffer_store_dword v48, v46, s[0:3], 0 offen
	s_or_b64 exec, exec, s[38:39]
	s_and_saveexec_b64 s[36:37], s[34:35]
	s_cbranch_execz .LBB72_35
.LBB72_51:                              ;   in Loop: Header=BB72_3 Depth=1
	buffer_load_dword v48, off, s[0:3], 0
	buffer_load_dword v49, off, s[0:3], 0 offset:4
	buffer_load_dword v50, off, s[0:3], 0 offset:8
	;; [unrolled: 1-line block ×3, first 2 shown]
	v_lshlrev_b64 v[52:53], 4, v[0:1]
	v_mov_b32_e32 v1, s45
	v_add_co_u32_e64 v52, s[34:35], s44, v52
	v_addc_co_u32_e64 v53, s[34:35], v1, v53, s[34:35]
	s_waitcnt vmcnt(0)
	global_store_dwordx4 v[52:53], v[48:51], off
	s_or_b64 exec, exec, s[36:37]
	s_and_saveexec_b64 s[34:35], s[30:31]
	s_cbranch_execz .LBB72_36
.LBB72_52:                              ;   in Loop: Header=BB72_3 Depth=1
	buffer_load_dword v48, v32, s[0:3], 0 offen
	buffer_load_dword v49, v32, s[0:3], 0 offen offset:4
	buffer_load_dword v50, v32, s[0:3], 0 offen offset:8
	;; [unrolled: 1-line block ×3, first 2 shown]
	v_lshlrev_b64 v[30:31], 4, v[30:31]
	v_mov_b32_e32 v1, s45
	v_add_co_u32_e64 v30, s[30:31], s44, v30
	v_addc_co_u32_e64 v31, s[30:31], v1, v31, s[30:31]
	s_waitcnt vmcnt(0)
	global_store_dwordx4 v[30:31], v[48:51], off
	s_or_b64 exec, exec, s[34:35]
	s_and_saveexec_b64 s[30:31], s[28:29]
	s_cbranch_execz .LBB72_37
.LBB72_53:                              ;   in Loop: Header=BB72_3 Depth=1
	buffer_load_dword v48, v33, s[0:3], 0 offen
	buffer_load_dword v49, v33, s[0:3], 0 offen offset:4
	buffer_load_dword v50, v33, s[0:3], 0 offen offset:8
	;; [unrolled: 1-line block ×3, first 2 shown]
	v_lshlrev_b64 v[28:29], 4, v[28:29]
	v_mov_b32_e32 v1, s45
	v_add_co_u32_e64 v28, s[28:29], s44, v28
	v_addc_co_u32_e64 v29, s[28:29], v1, v29, s[28:29]
	s_waitcnt vmcnt(0)
	global_store_dwordx4 v[28:29], v[48:51], off
	s_or_b64 exec, exec, s[30:31]
	s_and_saveexec_b64 s[28:29], s[26:27]
	s_cbranch_execz .LBB72_38
.LBB72_54:                              ;   in Loop: Header=BB72_3 Depth=1
	buffer_load_dword v28, v34, s[0:3], 0 offen
	buffer_load_dword v29, v34, s[0:3], 0 offen offset:4
	buffer_load_dword v30, v34, s[0:3], 0 offen offset:8
	;; [unrolled: 1-line block ×3, first 2 shown]
	v_lshlrev_b64 v[26:27], 4, v[26:27]
	v_mov_b32_e32 v1, s45
	v_add_co_u32_e64 v26, s[26:27], s44, v26
	v_addc_co_u32_e64 v27, s[26:27], v1, v27, s[26:27]
	s_waitcnt vmcnt(0)
	global_store_dwordx4 v[26:27], v[28:31], off
	s_or_b64 exec, exec, s[28:29]
	s_and_saveexec_b64 s[26:27], s[24:25]
	s_cbranch_execz .LBB72_39
.LBB72_55:                              ;   in Loop: Header=BB72_3 Depth=1
	buffer_load_dword v26, v35, s[0:3], 0 offen
	buffer_load_dword v27, v35, s[0:3], 0 offen offset:4
	buffer_load_dword v28, v35, s[0:3], 0 offen offset:8
	;; [unrolled: 1-line block ×3, first 2 shown]
	v_lshlrev_b64 v[24:25], 4, v[24:25]
	v_mov_b32_e32 v1, s45
	v_add_co_u32_e64 v24, s[24:25], s44, v24
	v_addc_co_u32_e64 v25, s[24:25], v1, v25, s[24:25]
	s_waitcnt vmcnt(0)
	global_store_dwordx4 v[24:25], v[26:29], off
	s_or_b64 exec, exec, s[26:27]
	s_and_saveexec_b64 s[24:25], s[22:23]
	s_cbranch_execz .LBB72_40
.LBB72_56:                              ;   in Loop: Header=BB72_3 Depth=1
	buffer_load_dword v24, v36, s[0:3], 0 offen
	buffer_load_dword v25, v36, s[0:3], 0 offen offset:4
	buffer_load_dword v26, v36, s[0:3], 0 offen offset:8
	;; [unrolled: 1-line block ×3, first 2 shown]
	v_lshlrev_b64 v[22:23], 4, v[22:23]
	v_mov_b32_e32 v1, s45
	v_add_co_u32_e64 v22, s[22:23], s44, v22
	v_addc_co_u32_e64 v23, s[22:23], v1, v23, s[22:23]
	s_waitcnt vmcnt(0)
	global_store_dwordx4 v[22:23], v[24:27], off
	s_or_b64 exec, exec, s[24:25]
	s_and_saveexec_b64 s[22:23], s[20:21]
	s_cbranch_execz .LBB72_41
.LBB72_57:                              ;   in Loop: Header=BB72_3 Depth=1
	buffer_load_dword v22, v37, s[0:3], 0 offen
	buffer_load_dword v23, v37, s[0:3], 0 offen offset:4
	buffer_load_dword v24, v37, s[0:3], 0 offen offset:8
	;; [unrolled: 1-line block ×3, first 2 shown]
	v_lshlrev_b64 v[20:21], 4, v[20:21]
	v_mov_b32_e32 v1, s45
	v_add_co_u32_e64 v20, s[20:21], s44, v20
	v_addc_co_u32_e64 v21, s[20:21], v1, v21, s[20:21]
	s_waitcnt vmcnt(0)
	global_store_dwordx4 v[20:21], v[22:25], off
	s_or_b64 exec, exec, s[22:23]
	s_and_saveexec_b64 s[20:21], s[18:19]
	s_cbranch_execz .LBB72_42
.LBB72_58:                              ;   in Loop: Header=BB72_3 Depth=1
	buffer_load_dword v20, v38, s[0:3], 0 offen
	buffer_load_dword v21, v38, s[0:3], 0 offen offset:4
	buffer_load_dword v22, v38, s[0:3], 0 offen offset:8
	;; [unrolled: 1-line block ×3, first 2 shown]
	v_lshlrev_b64 v[18:19], 4, v[18:19]
	v_mov_b32_e32 v1, s45
	v_add_co_u32_e64 v18, s[18:19], s44, v18
	v_addc_co_u32_e64 v19, s[18:19], v1, v19, s[18:19]
	s_waitcnt vmcnt(0)
	global_store_dwordx4 v[18:19], v[20:23], off
	s_or_b64 exec, exec, s[20:21]
	s_and_saveexec_b64 s[18:19], s[16:17]
	s_cbranch_execz .LBB72_43
.LBB72_59:                              ;   in Loop: Header=BB72_3 Depth=1
	buffer_load_dword v18, v39, s[0:3], 0 offen
	buffer_load_dword v19, v39, s[0:3], 0 offen offset:4
	buffer_load_dword v20, v39, s[0:3], 0 offen offset:8
	;; [unrolled: 1-line block ×3, first 2 shown]
	v_lshlrev_b64 v[16:17], 4, v[16:17]
	v_mov_b32_e32 v1, s45
	v_add_co_u32_e64 v16, s[16:17], s44, v16
	v_addc_co_u32_e64 v17, s[16:17], v1, v17, s[16:17]
	s_waitcnt vmcnt(0)
	global_store_dwordx4 v[16:17], v[18:21], off
	s_or_b64 exec, exec, s[18:19]
	s_and_saveexec_b64 s[16:17], s[14:15]
	s_cbranch_execz .LBB72_44
.LBB72_60:                              ;   in Loop: Header=BB72_3 Depth=1
	buffer_load_dword v16, v40, s[0:3], 0 offen
	buffer_load_dword v17, v40, s[0:3], 0 offen offset:4
	buffer_load_dword v18, v40, s[0:3], 0 offen offset:8
	;; [unrolled: 1-line block ×3, first 2 shown]
	v_lshlrev_b64 v[14:15], 4, v[14:15]
	v_mov_b32_e32 v1, s45
	v_add_co_u32_e64 v14, s[14:15], s44, v14
	v_addc_co_u32_e64 v15, s[14:15], v1, v15, s[14:15]
	s_waitcnt vmcnt(0)
	global_store_dwordx4 v[14:15], v[16:19], off
	s_or_b64 exec, exec, s[16:17]
	s_and_saveexec_b64 s[14:15], s[12:13]
	s_cbranch_execz .LBB72_45
.LBB72_61:                              ;   in Loop: Header=BB72_3 Depth=1
	buffer_load_dword v14, v41, s[0:3], 0 offen
	buffer_load_dword v15, v41, s[0:3], 0 offen offset:4
	buffer_load_dword v16, v41, s[0:3], 0 offen offset:8
	;; [unrolled: 1-line block ×3, first 2 shown]
	v_lshlrev_b64 v[12:13], 4, v[12:13]
	v_mov_b32_e32 v1, s45
	v_add_co_u32_e64 v12, s[12:13], s44, v12
	v_addc_co_u32_e64 v13, s[12:13], v1, v13, s[12:13]
	s_waitcnt vmcnt(0)
	global_store_dwordx4 v[12:13], v[14:17], off
	s_or_b64 exec, exec, s[14:15]
	s_and_saveexec_b64 s[12:13], s[10:11]
	s_cbranch_execz .LBB72_46
.LBB72_62:                              ;   in Loop: Header=BB72_3 Depth=1
	buffer_load_dword v12, v42, s[0:3], 0 offen
	buffer_load_dword v13, v42, s[0:3], 0 offen offset:4
	buffer_load_dword v14, v42, s[0:3], 0 offen offset:8
	;; [unrolled: 1-line block ×3, first 2 shown]
	v_lshlrev_b64 v[10:11], 4, v[10:11]
	v_mov_b32_e32 v1, s45
	v_add_co_u32_e64 v10, s[10:11], s44, v10
	v_addc_co_u32_e64 v11, s[10:11], v1, v11, s[10:11]
	s_waitcnt vmcnt(0)
	global_store_dwordx4 v[10:11], v[12:15], off
	s_or_b64 exec, exec, s[12:13]
	s_and_saveexec_b64 s[10:11], s[8:9]
	s_cbranch_execz .LBB72_47
.LBB72_63:                              ;   in Loop: Header=BB72_3 Depth=1
	buffer_load_dword v10, v43, s[0:3], 0 offen
	buffer_load_dword v11, v43, s[0:3], 0 offen offset:4
	buffer_load_dword v12, v43, s[0:3], 0 offen offset:8
	;; [unrolled: 1-line block ×3, first 2 shown]
	v_lshlrev_b64 v[8:9], 4, v[8:9]
	v_mov_b32_e32 v1, s45
	v_add_co_u32_e64 v8, s[8:9], s44, v8
	v_addc_co_u32_e64 v9, s[8:9], v1, v9, s[8:9]
	s_waitcnt vmcnt(0)
	global_store_dwordx4 v[8:9], v[10:13], off
	s_or_b64 exec, exec, s[10:11]
	s_and_saveexec_b64 s[8:9], s[6:7]
	s_cbranch_execz .LBB72_48
.LBB72_64:                              ;   in Loop: Header=BB72_3 Depth=1
	buffer_load_dword v8, v44, s[0:3], 0 offen
	buffer_load_dword v9, v44, s[0:3], 0 offen offset:4
	buffer_load_dword v10, v44, s[0:3], 0 offen offset:8
	;; [unrolled: 1-line block ×3, first 2 shown]
	v_lshlrev_b64 v[6:7], 4, v[6:7]
	v_mov_b32_e32 v1, s45
	v_add_co_u32_e64 v6, s[6:7], s44, v6
	v_addc_co_u32_e64 v7, s[6:7], v1, v7, s[6:7]
	s_waitcnt vmcnt(0)
	global_store_dwordx4 v[6:7], v[8:11], off
	s_or_b64 exec, exec, s[8:9]
	s_and_saveexec_b64 s[6:7], s[4:5]
	s_cbranch_execz .LBB72_49
.LBB72_65:                              ;   in Loop: Header=BB72_3 Depth=1
	buffer_load_dword v6, v45, s[0:3], 0 offen
	buffer_load_dword v7, v45, s[0:3], 0 offen offset:4
	buffer_load_dword v8, v45, s[0:3], 0 offen offset:8
	;; [unrolled: 1-line block ×3, first 2 shown]
	v_lshlrev_b64 v[4:5], 4, v[4:5]
	v_mov_b32_e32 v1, s45
	v_add_co_u32_e64 v4, s[4:5], s44, v4
	v_addc_co_u32_e64 v5, s[4:5], v1, v5, s[4:5]
	s_waitcnt vmcnt(0)
	global_store_dwordx4 v[4:5], v[6:9], off
	s_or_b64 exec, exec, s[6:7]
	s_and_saveexec_b64 s[4:5], vcc
	s_cbranch_execz .LBB72_2
.LBB72_66:                              ;   in Loop: Header=BB72_3 Depth=1
	buffer_load_dword v4, v46, s[0:3], 0 offen
	buffer_load_dword v5, v46, s[0:3], 0 offen offset:4
	buffer_load_dword v6, v46, s[0:3], 0 offen offset:8
	;; [unrolled: 1-line block ×3, first 2 shown]
	v_lshlrev_b64 v[2:3], 4, v[2:3]
	v_mov_b32_e32 v1, s45
	v_add_co_u32_e32 v2, vcc, s44, v2
	v_addc_co_u32_e32 v3, vcc, v1, v3, vcc
	s_waitcnt vmcnt(0)
	global_store_dwordx4 v[2:3], v[4:7], off
	s_branch .LBB72_2
.LBB72_67:
	s_endpgm
	.section	.rodata,"a",@progbits
	.p2align	6, 0x0
	.amdhsa_kernel _ZN9rocsolver6v33100L11stedc_copyCI19rocblas_complex_numIdEPS3_S4_EEviT0_iilT1_iil
		.amdhsa_group_segment_fixed_size 0
		.amdhsa_private_segment_fixed_size 272
		.amdhsa_kernarg_size 312
		.amdhsa_user_sgpr_count 8
		.amdhsa_user_sgpr_private_segment_buffer 1
		.amdhsa_user_sgpr_dispatch_ptr 0
		.amdhsa_user_sgpr_queue_ptr 0
		.amdhsa_user_sgpr_kernarg_segment_ptr 1
		.amdhsa_user_sgpr_dispatch_id 0
		.amdhsa_user_sgpr_flat_scratch_init 1
		.amdhsa_user_sgpr_kernarg_preload_length 0
		.amdhsa_user_sgpr_kernarg_preload_offset 0
		.amdhsa_user_sgpr_private_segment_size 0
		.amdhsa_uses_dynamic_stack 0
		.amdhsa_system_sgpr_private_segment_wavefront_offset 1
		.amdhsa_system_sgpr_workgroup_id_x 1
		.amdhsa_system_sgpr_workgroup_id_y 1
		.amdhsa_system_sgpr_workgroup_id_z 0
		.amdhsa_system_sgpr_workgroup_info 0
		.amdhsa_system_vgpr_workitem_id 0
		.amdhsa_next_free_vgpr 54
		.amdhsa_next_free_sgpr 61
		.amdhsa_accum_offset 56
		.amdhsa_reserve_vcc 1
		.amdhsa_reserve_flat_scratch 0
		.amdhsa_float_round_mode_32 0
		.amdhsa_float_round_mode_16_64 0
		.amdhsa_float_denorm_mode_32 3
		.amdhsa_float_denorm_mode_16_64 3
		.amdhsa_dx10_clamp 1
		.amdhsa_ieee_mode 1
		.amdhsa_fp16_overflow 0
		.amdhsa_tg_split 0
		.amdhsa_exception_fp_ieee_invalid_op 0
		.amdhsa_exception_fp_denorm_src 0
		.amdhsa_exception_fp_ieee_div_zero 0
		.amdhsa_exception_fp_ieee_overflow 0
		.amdhsa_exception_fp_ieee_underflow 0
		.amdhsa_exception_fp_ieee_inexact 0
		.amdhsa_exception_int_div_zero 0
	.end_amdhsa_kernel
	.section	.text._ZN9rocsolver6v33100L11stedc_copyCI19rocblas_complex_numIdEPS3_S4_EEviT0_iilT1_iil,"axG",@progbits,_ZN9rocsolver6v33100L11stedc_copyCI19rocblas_complex_numIdEPS3_S4_EEviT0_iilT1_iil,comdat
.Lfunc_end72:
	.size	_ZN9rocsolver6v33100L11stedc_copyCI19rocblas_complex_numIdEPS3_S4_EEviT0_iilT1_iil, .Lfunc_end72-_ZN9rocsolver6v33100L11stedc_copyCI19rocblas_complex_numIdEPS3_S4_EEviT0_iilT1_iil
                                        ; -- End function
	.section	.AMDGPU.csdata,"",@progbits
; Kernel info:
; codeLenInByte = 3584
; NumSgprs: 65
; NumVgprs: 54
; NumAgprs: 0
; TotalNumVgprs: 54
; ScratchSize: 272
; MemoryBound: 0
; FloatMode: 240
; IeeeMode: 1
; LDSByteSize: 0 bytes/workgroup (compile time only)
; SGPRBlocks: 8
; VGPRBlocks: 6
; NumSGPRsForWavesPerEU: 65
; NumVGPRsForWavesPerEU: 54
; AccumOffset: 56
; Occupancy: 8
; WaveLimiterHint : 0
; COMPUTE_PGM_RSRC2:SCRATCH_EN: 1
; COMPUTE_PGM_RSRC2:USER_SGPR: 8
; COMPUTE_PGM_RSRC2:TRAP_HANDLER: 0
; COMPUTE_PGM_RSRC2:TGID_X_EN: 1
; COMPUTE_PGM_RSRC2:TGID_Y_EN: 1
; COMPUTE_PGM_RSRC2:TGID_Z_EN: 0
; COMPUTE_PGM_RSRC2:TIDIG_COMP_CNT: 0
; COMPUTE_PGM_RSRC3_GFX90A:ACCUM_OFFSET: 13
; COMPUTE_PGM_RSRC3_GFX90A:TG_SPLIT: 0
	.section	.text._ZN9rocsolver6v33100L10stedc_sortI19rocblas_complex_numIdEdPS3_S4_EEviPT0_lS6_lT1_iilT2_iil,"axG",@progbits,_ZN9rocsolver6v33100L10stedc_sortI19rocblas_complex_numIdEdPS3_S4_EEviPT0_lS6_lT1_iilT2_iil,comdat
	.globl	_ZN9rocsolver6v33100L10stedc_sortI19rocblas_complex_numIdEdPS3_S4_EEviPT0_lS6_lT1_iilT2_iil ; -- Begin function _ZN9rocsolver6v33100L10stedc_sortI19rocblas_complex_numIdEdPS3_S4_EEviPT0_lS6_lT1_iilT2_iil
	.p2align	8
	.type	_ZN9rocsolver6v33100L10stedc_sortI19rocblas_complex_numIdEdPS3_S4_EEviPT0_lS6_lT1_iilT2_iil,@function
_ZN9rocsolver6v33100L10stedc_sortI19rocblas_complex_numIdEdPS3_S4_EEviPT0_lS6_lT1_iilT2_iil: ; @_ZN9rocsolver6v33100L10stedc_sortI19rocblas_complex_numIdEdPS3_S4_EEviPT0_lS6_lT1_iilT2_iil
; %bb.0:
	s_load_dwordx8 s[40:47], s[6:7], 0x8
	s_add_u32 s0, s0, s12
	s_addc_u32 s1, s1, 0
	s_ashr_i32 s72, s11, 31
	s_load_dword s12, s[6:7], 0x64
	s_waitcnt lgkmcnt(0)
	s_mul_i32 s8, s11, s43
	s_mul_hi_u32 s9, s11, s42
	s_add_i32 s8, s9, s8
	s_mul_i32 s9, s72, s42
	s_add_i32 s9, s8, s9
	s_mul_i32 s8, s11, s42
	s_lshl_b64 s[8:9], s[8:9], 3
	s_add_u32 s73, s40, s8
	s_mov_b32 s33, s11
	s_addc_u32 s74, s41, s9
	s_ashr_i32 s11, s10, 31
	s_lshl_b64 s[50:51], s[10:11], 3
	s_add_u32 s8, s73, s50
	s_addc_u32 s9, s74, s51
	s_and_b32 s58, s12, 0xffff
	s_lshl_b32 s59, s58, 4
	v_cvt_f32_u32_e32 v1, s59
	s_load_dword s60, s[6:7], 0x0
	s_load_dwordx2 s[48:49], s[6:7], 0x28
	s_sub_i32 s11, 0, s59
	s_load_dwordx2 s[52:53], s[8:9], 0x0
	v_rcp_iflag_f32_e32 v1, v1
	s_waitcnt lgkmcnt(0)
	s_add_i32 s8, s60, -1
	s_ashr_i32 s9, s8, 31
	s_abs_i32 s8, s8
	v_mul_f32_e32 v1, 0x4f7ffffe, v1
	v_cvt_u32_f32_e32 v1, v1
	v_and_b32_e32 v34, 0x3ff, v0
	v_mov_b32_e32 v35, 0
	s_mul_i32 s61, s58, 3
	v_readfirstlane_b32 s12, v1
	s_mul_i32 s11, s11, s12
	s_mul_hi_u32 s11, s12, s11
	s_add_i32 s12, s12, s11
	s_mul_hi_u32 s11, s8, s12
	s_mul_i32 s12, s11, s59
	s_sub_i32 s8, s8, s12
	s_add_i32 s12, s11, 1
	s_sub_i32 s13, s8, s59
	s_cmp_ge_u32 s8, s59
	s_cselect_b32 s11, s12, s11
	s_cselect_b32 s8, s13, s8
	s_add_i32 s12, s11, 1
	s_cmp_ge_u32 s8, s59
	s_cselect_b32 s8, s12, s11
	s_xor_b32 s8, s8, s9
	s_sub_i32 s11, s8, s9
	s_cmp_gt_i32 s11, -1
	s_cselect_b64 s[54:55], -1, 0
	s_cmp_lt_i32 s11, 0
	s_mul_i32 s62, s58, 5
	s_mul_i32 s63, s58, 6
	s_mul_i32 s64, s58, 7
	s_mul_i32 s65, s58, 9
	s_mul_i32 s66, s58, 10
	s_mul_i32 s67, s58, 11
	s_mul_i32 s68, s58, 12
	s_mul_i32 s69, s58, 13
	s_mul_i32 s70, s58, 14
	s_mul_i32 s71, s58, 15
	s_cbranch_scc1 .LBB73_67
; %bb.1:
	s_add_i32 s75, s11, 1
	s_lshl_b32 s76, s58, 1
	s_lshl_b32 s77, s58, 2
	;; [unrolled: 1-line block ×3, first 2 shown]
	v_mov_b32_e32 v1, 0
	v_mov_b32_e32 v36, v34
	;; [unrolled: 1-line block ×4, first 2 shown]
                                        ; implicit-def: $vgpr4_vgpr5
                                        ; implicit-def: $vgpr8_vgpr9
                                        ; implicit-def: $vgpr12_vgpr13
                                        ; implicit-def: $vgpr16_vgpr17
                                        ; implicit-def: $vgpr20_vgpr21
                                        ; implicit-def: $vgpr24_vgpr25
                                        ; implicit-def: $vgpr28_vgpr29
                                        ; implicit-def: $vgpr32_vgpr33
	s_branch .LBB73_3
.LBB73_2:                               ;   in Loop: Header=BB73_3 Depth=1
	s_or_b64 exec, exec, s[12:13]
	s_add_i32 s75, s75, -1
	s_cmp_eq_u32 s75, 0
	v_add_u32_e32 v36, s59, v36
	s_cbranch_scc1 .LBB73_68
.LBB73_3:                               ; =>This Inner Loop Header: Depth=1
	v_cmp_gt_i32_e64 s[40:41], s60, v36
	s_and_saveexec_b64 s[8:9], s[40:41]
	s_cbranch_execz .LBB73_5
; %bb.4:                                ;   in Loop: Header=BB73_3 Depth=1
	v_ashrrev_i32_e32 v37, 31, v36
	s_waitcnt vmcnt(0)
	v_lshlrev_b64 v[30:31], 3, v[36:37]
	v_mov_b32_e32 v37, s74
	v_add_co_u32_e32 v30, vcc, s73, v30
	v_addc_co_u32_e32 v31, vcc, v37, v31, vcc
	global_load_dwordx2 v[30:31], v[30:31], off
.LBB73_5:                               ;   in Loop: Header=BB73_3 Depth=1
	s_or_b64 exec, exec, s[8:9]
	v_add_u32_e32 v66, s58, v36
	v_cmp_gt_i32_e64 s[38:39], s60, v66
	s_and_saveexec_b64 s[8:9], s[38:39]
	s_cbranch_execz .LBB73_7
; %bb.6:                                ;   in Loop: Header=BB73_3 Depth=1
	v_ashrrev_i32_e32 v67, 31, v66
	s_waitcnt vmcnt(0)
	v_lshlrev_b64 v[32:33], 3, v[66:67]
	v_mov_b32_e32 v37, s74
	v_add_co_u32_e32 v32, vcc, s73, v32
	v_addc_co_u32_e32 v33, vcc, v37, v33, vcc
	global_load_dwordx2 v[32:33], v[32:33], off
.LBB73_7:                               ;   in Loop: Header=BB73_3 Depth=1
	s_or_b64 exec, exec, s[8:9]
	v_add_u32_e32 v64, s76, v36
	;; [unrolled: 14-line block ×3, first 2 shown]
	v_cmp_gt_i32_e64 s[34:35], s60, v62
	s_and_saveexec_b64 s[8:9], s[34:35]
	s_cbranch_execz .LBB73_11
; %bb.10:                               ;   in Loop: Header=BB73_3 Depth=1
	v_ashrrev_i32_e32 v63, 31, v62
	s_waitcnt vmcnt(0)
	v_lshlrev_b64 v[28:29], 3, v[62:63]
	v_mov_b32_e32 v37, s74
	v_add_co_u32_e32 v28, vcc, s73, v28
	v_addc_co_u32_e32 v29, vcc, v37, v29, vcc
	global_load_dwordx2 v[28:29], v[28:29], off
.LBB73_11:                              ;   in Loop: Header=BB73_3 Depth=1
	s_or_b64 exec, exec, s[8:9]
	v_add_u32_e32 v60, s77, v36
	v_cmp_gt_i32_e64 s[30:31], s60, v60
	s_and_saveexec_b64 s[8:9], s[30:31]
	s_cbranch_execz .LBB73_13
; %bb.12:                               ;   in Loop: Header=BB73_3 Depth=1
	v_ashrrev_i32_e32 v61, 31, v60
	s_waitcnt vmcnt(0)
	v_lshlrev_b64 v[22:23], 3, v[60:61]
	v_mov_b32_e32 v37, s74
	v_add_co_u32_e32 v22, vcc, s73, v22
	v_addc_co_u32_e32 v23, vcc, v37, v23, vcc
	global_load_dwordx2 v[22:23], v[22:23], off
.LBB73_13:                              ;   in Loop: Header=BB73_3 Depth=1
	s_or_b64 exec, exec, s[8:9]
	v_add_u32_e32 v58, s62, v36
	;; [unrolled: 14-line block ×12, first 2 shown]
	v_cmp_gt_i32_e32 vcc, s60, v38
	s_and_saveexec_b64 s[56:57], vcc
	s_cbranch_execnz .LBB73_50
; %bb.34:                               ;   in Loop: Header=BB73_3 Depth=1
	s_or_b64 exec, exec, s[56:57]
	s_and_saveexec_b64 s[56:57], s[40:41]
	s_cbranch_execnz .LBB73_51
.LBB73_35:                              ;   in Loop: Header=BB73_3 Depth=1
	s_or_b64 exec, exec, s[56:57]
	s_and_saveexec_b64 s[42:43], s[38:39]
	s_cbranch_execnz .LBB73_52
.LBB73_36:                              ;   in Loop: Header=BB73_3 Depth=1
	s_or_b64 exec, exec, s[42:43]
	s_and_saveexec_b64 s[40:41], s[36:37]
	s_cbranch_execnz .LBB73_53
.LBB73_37:                              ;   in Loop: Header=BB73_3 Depth=1
	s_or_b64 exec, exec, s[40:41]
	s_and_saveexec_b64 s[38:39], s[34:35]
	s_cbranch_execnz .LBB73_54
.LBB73_38:                              ;   in Loop: Header=BB73_3 Depth=1
	s_or_b64 exec, exec, s[38:39]
	s_and_saveexec_b64 s[36:37], s[30:31]
	s_cbranch_execnz .LBB73_55
.LBB73_39:                              ;   in Loop: Header=BB73_3 Depth=1
	s_or_b64 exec, exec, s[36:37]
	s_and_saveexec_b64 s[34:35], s[28:29]
	s_cbranch_execnz .LBB73_56
.LBB73_40:                              ;   in Loop: Header=BB73_3 Depth=1
	s_or_b64 exec, exec, s[34:35]
	s_and_saveexec_b64 s[30:31], s[26:27]
	s_cbranch_execnz .LBB73_57
.LBB73_41:                              ;   in Loop: Header=BB73_3 Depth=1
	s_or_b64 exec, exec, s[30:31]
	s_and_saveexec_b64 s[28:29], s[24:25]
	s_cbranch_execnz .LBB73_58
.LBB73_42:                              ;   in Loop: Header=BB73_3 Depth=1
	s_or_b64 exec, exec, s[28:29]
	s_and_saveexec_b64 s[26:27], s[22:23]
	s_cbranch_execnz .LBB73_59
.LBB73_43:                              ;   in Loop: Header=BB73_3 Depth=1
	s_or_b64 exec, exec, s[26:27]
	s_and_saveexec_b64 s[24:25], s[20:21]
	s_cbranch_execnz .LBB73_60
.LBB73_44:                              ;   in Loop: Header=BB73_3 Depth=1
	s_or_b64 exec, exec, s[24:25]
	s_and_saveexec_b64 s[22:23], s[18:19]
	s_cbranch_execnz .LBB73_61
.LBB73_45:                              ;   in Loop: Header=BB73_3 Depth=1
	s_or_b64 exec, exec, s[22:23]
	s_and_saveexec_b64 s[20:21], s[16:17]
	s_cbranch_execnz .LBB73_62
.LBB73_46:                              ;   in Loop: Header=BB73_3 Depth=1
	s_or_b64 exec, exec, s[20:21]
	s_and_saveexec_b64 s[18:19], s[14:15]
	s_cbranch_execnz .LBB73_63
.LBB73_47:                              ;   in Loop: Header=BB73_3 Depth=1
	s_or_b64 exec, exec, s[18:19]
	s_and_saveexec_b64 s[16:17], s[12:13]
	s_cbranch_execnz .LBB73_64
.LBB73_48:                              ;   in Loop: Header=BB73_3 Depth=1
	s_or_b64 exec, exec, s[16:17]
	s_and_saveexec_b64 s[14:15], s[8:9]
	s_cbranch_execnz .LBB73_65
.LBB73_49:                              ;   in Loop: Header=BB73_3 Depth=1
	s_or_b64 exec, exec, s[14:15]
	s_and_saveexec_b64 s[12:13], vcc
	s_cbranch_execz .LBB73_2
	s_branch .LBB73_66
.LBB73_50:                              ;   in Loop: Header=BB73_3 Depth=1
	v_ashrrev_i32_e32 v39, 31, v38
	s_waitcnt vmcnt(0)
	v_lshlrev_b64 v[4:5], 3, v[38:39]
	v_mov_b32_e32 v37, s74
	v_add_co_u32_e64 v4, s[42:43], s73, v4
	v_addc_co_u32_e64 v5, s[42:43], v37, v5, s[42:43]
	global_load_dwordx2 v[4:5], v[4:5], off
	s_or_b64 exec, exec, s[56:57]
	s_and_saveexec_b64 s[56:57], s[40:41]
	s_cbranch_execz .LBB73_35
.LBB73_51:                              ;   in Loop: Header=BB73_3 Depth=1
	s_waitcnt vmcnt(0)
	v_cmp_u_f64_e64 s[40:41], v[30:31], v[30:31]
	v_addc_co_u32_e64 v1, s[40:41], 0, v1, s[40:41]
	v_cmp_gt_f64_e64 s[40:41], s[52:53], v[30:31]
	v_addc_co_u32_e64 v35, s[40:41], 0, v35, s[40:41]
	v_cmp_eq_f64_e64 s[40:41], s[52:53], v[30:31]
	v_cmp_gt_i32_e64 s[42:43], s10, v36
	s_and_b64 s[40:41], s[42:43], s[40:41]
	v_addc_co_u32_e64 v68, s[40:41], 0, v68, s[40:41]
	s_or_b64 exec, exec, s[56:57]
	s_and_saveexec_b64 s[42:43], s[38:39]
	s_cbranch_execz .LBB73_36
.LBB73_52:                              ;   in Loop: Header=BB73_3 Depth=1
	s_waitcnt vmcnt(0)
	v_cmp_u_f64_e64 s[38:39], v[32:33], v[32:33]
	v_addc_co_u32_e64 v1, s[38:39], 0, v1, s[38:39]
	v_cmp_gt_f64_e64 s[38:39], s[52:53], v[32:33]
	v_addc_co_u32_e64 v35, s[38:39], 0, v35, s[38:39]
	v_cmp_eq_f64_e64 s[38:39], s[52:53], v[32:33]
	v_cmp_gt_i32_e64 s[40:41], s10, v66
	s_and_b64 s[38:39], s[40:41], s[38:39]
	v_addc_co_u32_e64 v68, s[38:39], 0, v68, s[38:39]
	s_or_b64 exec, exec, s[42:43]
	s_and_saveexec_b64 s[40:41], s[36:37]
	s_cbranch_execz .LBB73_37
.LBB73_53:                              ;   in Loop: Header=BB73_3 Depth=1
	s_waitcnt vmcnt(0)
	v_cmp_u_f64_e64 s[36:37], v[26:27], v[26:27]
	v_addc_co_u32_e64 v1, s[36:37], 0, v1, s[36:37]
	v_cmp_gt_f64_e64 s[36:37], s[52:53], v[26:27]
	v_addc_co_u32_e64 v35, s[36:37], 0, v35, s[36:37]
	v_cmp_eq_f64_e64 s[36:37], s[52:53], v[26:27]
	v_cmp_gt_i32_e64 s[38:39], s10, v64
	s_and_b64 s[36:37], s[38:39], s[36:37]
	v_addc_co_u32_e64 v68, s[36:37], 0, v68, s[36:37]
	s_or_b64 exec, exec, s[40:41]
	s_and_saveexec_b64 s[38:39], s[34:35]
	s_cbranch_execz .LBB73_38
.LBB73_54:                              ;   in Loop: Header=BB73_3 Depth=1
	s_waitcnt vmcnt(0)
	v_cmp_u_f64_e64 s[34:35], v[28:29], v[28:29]
	v_addc_co_u32_e64 v1, s[34:35], 0, v1, s[34:35]
	v_cmp_gt_f64_e64 s[34:35], s[52:53], v[28:29]
	v_addc_co_u32_e64 v35, s[34:35], 0, v35, s[34:35]
	v_cmp_eq_f64_e64 s[34:35], s[52:53], v[28:29]
	v_cmp_gt_i32_e64 s[36:37], s10, v62
	s_and_b64 s[34:35], s[36:37], s[34:35]
	v_addc_co_u32_e64 v68, s[34:35], 0, v68, s[34:35]
	s_or_b64 exec, exec, s[38:39]
	s_and_saveexec_b64 s[36:37], s[30:31]
	s_cbranch_execz .LBB73_39
.LBB73_55:                              ;   in Loop: Header=BB73_3 Depth=1
	s_waitcnt vmcnt(0)
	v_cmp_u_f64_e64 s[30:31], v[22:23], v[22:23]
	v_addc_co_u32_e64 v1, s[30:31], 0, v1, s[30:31]
	v_cmp_gt_f64_e64 s[30:31], s[52:53], v[22:23]
	v_addc_co_u32_e64 v35, s[30:31], 0, v35, s[30:31]
	v_cmp_eq_f64_e64 s[30:31], s[52:53], v[22:23]
	v_cmp_gt_i32_e64 s[34:35], s10, v60
	s_and_b64 s[30:31], s[34:35], s[30:31]
	v_addc_co_u32_e64 v68, s[30:31], 0, v68, s[30:31]
	s_or_b64 exec, exec, s[36:37]
	s_and_saveexec_b64 s[34:35], s[28:29]
	s_cbranch_execz .LBB73_40
.LBB73_56:                              ;   in Loop: Header=BB73_3 Depth=1
	s_waitcnt vmcnt(0)
	v_cmp_u_f64_e64 s[28:29], v[24:25], v[24:25]
	v_addc_co_u32_e64 v1, s[28:29], 0, v1, s[28:29]
	v_cmp_gt_f64_e64 s[28:29], s[52:53], v[24:25]
	v_addc_co_u32_e64 v35, s[28:29], 0, v35, s[28:29]
	v_cmp_eq_f64_e64 s[28:29], s[52:53], v[24:25]
	v_cmp_gt_i32_e64 s[30:31], s10, v58
	s_and_b64 s[28:29], s[30:31], s[28:29]
	v_addc_co_u32_e64 v68, s[28:29], 0, v68, s[28:29]
	s_or_b64 exec, exec, s[34:35]
	s_and_saveexec_b64 s[30:31], s[26:27]
	s_cbranch_execz .LBB73_41
.LBB73_57:                              ;   in Loop: Header=BB73_3 Depth=1
	s_waitcnt vmcnt(0)
	v_cmp_u_f64_e64 s[26:27], v[18:19], v[18:19]
	v_addc_co_u32_e64 v1, s[26:27], 0, v1, s[26:27]
	v_cmp_gt_f64_e64 s[26:27], s[52:53], v[18:19]
	v_addc_co_u32_e64 v35, s[26:27], 0, v35, s[26:27]
	v_cmp_eq_f64_e64 s[26:27], s[52:53], v[18:19]
	v_cmp_gt_i32_e64 s[28:29], s10, v56
	s_and_b64 s[26:27], s[28:29], s[26:27]
	v_addc_co_u32_e64 v68, s[26:27], 0, v68, s[26:27]
	s_or_b64 exec, exec, s[30:31]
	s_and_saveexec_b64 s[28:29], s[24:25]
	s_cbranch_execz .LBB73_42
.LBB73_58:                              ;   in Loop: Header=BB73_3 Depth=1
	s_waitcnt vmcnt(0)
	v_cmp_u_f64_e64 s[24:25], v[20:21], v[20:21]
	v_addc_co_u32_e64 v1, s[24:25], 0, v1, s[24:25]
	v_cmp_gt_f64_e64 s[24:25], s[52:53], v[20:21]
	v_addc_co_u32_e64 v35, s[24:25], 0, v35, s[24:25]
	v_cmp_eq_f64_e64 s[24:25], s[52:53], v[20:21]
	v_cmp_gt_i32_e64 s[26:27], s10, v54
	s_and_b64 s[24:25], s[26:27], s[24:25]
	v_addc_co_u32_e64 v68, s[24:25], 0, v68, s[24:25]
	s_or_b64 exec, exec, s[28:29]
	s_and_saveexec_b64 s[26:27], s[22:23]
	s_cbranch_execz .LBB73_43
.LBB73_59:                              ;   in Loop: Header=BB73_3 Depth=1
	s_waitcnt vmcnt(0)
	v_cmp_u_f64_e64 s[22:23], v[14:15], v[14:15]
	v_addc_co_u32_e64 v1, s[22:23], 0, v1, s[22:23]
	v_cmp_gt_f64_e64 s[22:23], s[52:53], v[14:15]
	v_addc_co_u32_e64 v35, s[22:23], 0, v35, s[22:23]
	v_cmp_eq_f64_e64 s[22:23], s[52:53], v[14:15]
	v_cmp_gt_i32_e64 s[24:25], s10, v52
	s_and_b64 s[22:23], s[24:25], s[22:23]
	v_addc_co_u32_e64 v68, s[22:23], 0, v68, s[22:23]
	s_or_b64 exec, exec, s[26:27]
	s_and_saveexec_b64 s[24:25], s[20:21]
	s_cbranch_execz .LBB73_44
.LBB73_60:                              ;   in Loop: Header=BB73_3 Depth=1
	s_waitcnt vmcnt(0)
	v_cmp_u_f64_e64 s[20:21], v[16:17], v[16:17]
	v_addc_co_u32_e64 v1, s[20:21], 0, v1, s[20:21]
	v_cmp_gt_f64_e64 s[20:21], s[52:53], v[16:17]
	v_addc_co_u32_e64 v35, s[20:21], 0, v35, s[20:21]
	v_cmp_eq_f64_e64 s[20:21], s[52:53], v[16:17]
	v_cmp_gt_i32_e64 s[22:23], s10, v50
	s_and_b64 s[20:21], s[22:23], s[20:21]
	v_addc_co_u32_e64 v68, s[20:21], 0, v68, s[20:21]
	s_or_b64 exec, exec, s[24:25]
	s_and_saveexec_b64 s[22:23], s[18:19]
	s_cbranch_execz .LBB73_45
.LBB73_61:                              ;   in Loop: Header=BB73_3 Depth=1
	s_waitcnt vmcnt(0)
	v_cmp_u_f64_e64 s[18:19], v[10:11], v[10:11]
	v_addc_co_u32_e64 v1, s[18:19], 0, v1, s[18:19]
	v_cmp_gt_f64_e64 s[18:19], s[52:53], v[10:11]
	v_addc_co_u32_e64 v35, s[18:19], 0, v35, s[18:19]
	v_cmp_eq_f64_e64 s[18:19], s[52:53], v[10:11]
	v_cmp_gt_i32_e64 s[20:21], s10, v48
	s_and_b64 s[18:19], s[20:21], s[18:19]
	v_addc_co_u32_e64 v68, s[18:19], 0, v68, s[18:19]
	s_or_b64 exec, exec, s[22:23]
	s_and_saveexec_b64 s[20:21], s[16:17]
	s_cbranch_execz .LBB73_46
.LBB73_62:                              ;   in Loop: Header=BB73_3 Depth=1
	s_waitcnt vmcnt(0)
	v_cmp_u_f64_e64 s[16:17], v[12:13], v[12:13]
	v_addc_co_u32_e64 v1, s[16:17], 0, v1, s[16:17]
	v_cmp_gt_f64_e64 s[16:17], s[52:53], v[12:13]
	v_addc_co_u32_e64 v35, s[16:17], 0, v35, s[16:17]
	v_cmp_eq_f64_e64 s[16:17], s[52:53], v[12:13]
	v_cmp_gt_i32_e64 s[18:19], s10, v46
	s_and_b64 s[16:17], s[18:19], s[16:17]
	v_addc_co_u32_e64 v68, s[16:17], 0, v68, s[16:17]
	s_or_b64 exec, exec, s[20:21]
	s_and_saveexec_b64 s[18:19], s[14:15]
	s_cbranch_execz .LBB73_47
.LBB73_63:                              ;   in Loop: Header=BB73_3 Depth=1
	s_waitcnt vmcnt(0)
	v_cmp_u_f64_e64 s[14:15], v[6:7], v[6:7]
	v_addc_co_u32_e64 v1, s[14:15], 0, v1, s[14:15]
	v_cmp_gt_f64_e64 s[14:15], s[52:53], v[6:7]
	v_addc_co_u32_e64 v35, s[14:15], 0, v35, s[14:15]
	v_cmp_eq_f64_e64 s[14:15], s[52:53], v[6:7]
	v_cmp_gt_i32_e64 s[16:17], s10, v44
	s_and_b64 s[14:15], s[16:17], s[14:15]
	v_addc_co_u32_e64 v68, s[14:15], 0, v68, s[14:15]
	s_or_b64 exec, exec, s[18:19]
	s_and_saveexec_b64 s[16:17], s[12:13]
	s_cbranch_execz .LBB73_48
.LBB73_64:                              ;   in Loop: Header=BB73_3 Depth=1
	s_waitcnt vmcnt(0)
	v_cmp_u_f64_e64 s[12:13], v[8:9], v[8:9]
	v_addc_co_u32_e64 v1, s[12:13], 0, v1, s[12:13]
	v_cmp_gt_f64_e64 s[12:13], s[52:53], v[8:9]
	v_addc_co_u32_e64 v35, s[12:13], 0, v35, s[12:13]
	v_cmp_eq_f64_e64 s[12:13], s[52:53], v[8:9]
	v_cmp_gt_i32_e64 s[14:15], s10, v42
	s_and_b64 s[12:13], s[14:15], s[12:13]
	v_addc_co_u32_e64 v68, s[12:13], 0, v68, s[12:13]
	s_or_b64 exec, exec, s[16:17]
	s_and_saveexec_b64 s[14:15], s[8:9]
	s_cbranch_execz .LBB73_49
.LBB73_65:                              ;   in Loop: Header=BB73_3 Depth=1
	s_waitcnt vmcnt(0)
	v_cmp_u_f64_e64 s[8:9], v[2:3], v[2:3]
	v_addc_co_u32_e64 v1, s[8:9], 0, v1, s[8:9]
	v_cmp_gt_f64_e64 s[8:9], s[52:53], v[2:3]
	v_addc_co_u32_e64 v35, s[8:9], 0, v35, s[8:9]
	v_cmp_eq_f64_e64 s[8:9], s[52:53], v[2:3]
	v_cmp_gt_i32_e64 s[12:13], s10, v40
	s_and_b64 s[8:9], s[12:13], s[8:9]
	v_addc_co_u32_e64 v68, s[8:9], 0, v68, s[8:9]
	s_or_b64 exec, exec, s[14:15]
	s_and_saveexec_b64 s[12:13], vcc
	s_cbranch_execz .LBB73_2
.LBB73_66:                              ;   in Loop: Header=BB73_3 Depth=1
	s_waitcnt vmcnt(0)
	v_cmp_u_f64_e32 vcc, v[4:5], v[4:5]
	v_addc_co_u32_e32 v1, vcc, 0, v1, vcc
	v_cmp_gt_f64_e32 vcc, s[52:53], v[4:5]
	v_addc_co_u32_e32 v35, vcc, 0, v35, vcc
	v_cmp_eq_f64_e32 vcc, s[52:53], v[4:5]
	v_cmp_gt_i32_e64 s[8:9], s10, v38
	s_and_b64 vcc, s[8:9], vcc
	v_addc_co_u32_e32 v68, vcc, 0, v68, vcc
	s_branch .LBB73_2
.LBB73_67:
	s_mov_b64 s[8:9], -1
                                        ; implicit-def: $vgpr30_vgpr31
                                        ; implicit-def: $vgpr26_vgpr27
                                        ; implicit-def: $vgpr22_vgpr23
                                        ; implicit-def: $vgpr18_vgpr19
                                        ; implicit-def: $vgpr14_vgpr15
                                        ; implicit-def: $vgpr10_vgpr11
                                        ; implicit-def: $vgpr6_vgpr7
                                        ; implicit-def: $vgpr2_vgpr3
	v_lshlrev_b32_e32 v1, 2, v34
	s_cmp_lt_u32 s58, 2
	ds_write_b32 v1, v35
	s_cbranch_scc0 .LBB73_69
	s_branch .LBB73_73
.LBB73_68:
	v_add_u32_e32 v35, v35, v68
	v_cmp_eq_u32_e64 s[8:9], 0, v1
	v_lshlrev_b32_e32 v1, 2, v34
	s_cmp_lt_u32 s58, 2
	ds_write_b32 v1, v35
	s_cbranch_scc1 .LBB73_73
.LBB73_69:
	s_mov_b32 s14, s58
	s_branch .LBB73_71
.LBB73_70:                              ;   in Loop: Header=BB73_71 Depth=1
	s_or_b64 exec, exec, s[12:13]
	s_cmp_lt_u32 s14, 4
	s_mov_b32 s14, s15
	s_cbranch_scc1 .LBB73_73
.LBB73_71:                              ; =>This Inner Loop Header: Depth=1
	s_lshr_b32 s15, s14, 1
	v_cmp_gt_u32_e32 vcc, s15, v34
	s_waitcnt lgkmcnt(0)
	s_barrier
	s_and_saveexec_b64 s[12:13], vcc
	s_cbranch_execz .LBB73_70
; %bb.72:                               ;   in Loop: Header=BB73_71 Depth=1
	v_lshl_add_u32 v36, s15, 2, v1
	ds_read_b32 v36, v36
	s_waitcnt lgkmcnt(0)
	v_add_u32_e32 v35, v36, v35
	ds_write_b32 v1, v35
	s_branch .LBB73_70
.LBB73_73:
	v_mov_b32_e32 v1, 0
	s_xor_b64 s[12:13], s[8:9], -1
	s_mul_i32 s8, s33, s47
	s_mul_hi_u32 s9, s33, s46
	s_waitcnt lgkmcnt(0)
	s_barrier
	ds_read_b32 v35, v1
	s_add_i32 s8, s9, s8
	s_mul_i32 s9, s72, s46
	s_add_i32 s9, s8, s9
	s_mul_i32 s8, s33, s46
	s_lshl_b64 s[8:9], s[8:9], 3
	s_add_u32 s16, s44, s8
	s_addc_u32 s17, s45, s9
	s_waitcnt lgkmcnt(0)
	v_readfirstlane_b32 s8, v35
	v_cmp_eq_u32_e32 vcc, 0, v34
	s_and_saveexec_b64 s[14:15], vcc
	s_cbranch_execnz .LBB73_76
; %bb.74:
	s_or_b64 exec, exec, s[14:15]
	s_and_saveexec_b64 s[14:15], s[12:13]
	s_cbranch_execnz .LBB73_77
.LBB73_75:
	s_or_b64 exec, exec, s[14:15]
	s_andn2_b64 vcc, exec, s[54:55]
	s_cbranch_vccz .LBB73_78
	s_branch .LBB73_144
.LBB73_76:
	s_ashr_i32 s9, s8, 31
	s_lshl_b64 s[18:19], s[8:9], 3
	s_add_u32 s18, s16, s18
	s_addc_u32 s19, s17, s19
	v_pk_mov_b32 v[36:37], s[52:53], s[52:53] op_sel:[0,1]
	global_store_dwordx2 v1, v[36:37], s[18:19]
	s_or_b64 exec, exec, s[14:15]
	s_and_saveexec_b64 s[14:15], s[12:13]
	s_cbranch_execz .LBB73_75
.LBB73_77:
	s_add_u32 s12, s16, s50
	s_addc_u32 s13, s17, s51
	v_mov_b32_e32 v36, 0
	v_mov_b32_e32 v37, 0x7ff80000
	global_store_dwordx2 v36, v[36:37], s[12:13]
	s_or_b64 exec, exec, s[14:15]
	s_andn2_b64 vcc, exec, s[54:55]
	s_cbranch_vccnz .LBB73_144
.LBB73_78:
	s_load_dwordx2 s[20:21], s[6:7], 0x30
	s_load_dwordx8 s[12:19], s[6:7], 0x38
	v_bfe_u32 v35, v0, 10, 10
	s_load_dwordx2 s[4:5], s[4:5], 0x4
	v_bfe_u32 v0, v0, 20, 10
	s_waitcnt lgkmcnt(0)
	s_ashr_i32 s7, s20, 31
	s_mul_i32 s9, s33, s13
	s_mul_hi_u32 s13, s33, s12
	s_add_i32 s9, s13, s9
	s_mul_i32 s13, s72, s12
	s_add_i32 s13, s9, s13
	s_mul_i32 s12, s33, s12
	s_lshl_b64 s[12:13], s[12:13], 4
	s_mov_b32 s6, s20
	s_add_u32 s9, s48, s12
	s_addc_u32 s12, s49, s13
	s_lshl_b64 s[6:7], s[6:7], 4
	s_add_u32 s9, s9, s6
	s_addc_u32 s20, s12, s7
	s_mul_i32 s12, s33, s19
	s_mul_hi_u32 s13, s33, s18
	s_add_i32 s12, s13, s12
	s_mul_i32 s13, s72, s18
	s_add_i32 s13, s12, s13
	s_mul_i32 s12, s33, s18
	s_ashr_i32 s7, s16, 31
	s_lshl_b64 s[12:13], s[12:13], 4
	s_mov_b32 s6, s16
	s_add_u32 s12, s14, s12
	s_addc_u32 s13, s15, s13
	s_lshl_b64 s[6:7], s[6:7], 4
	s_add_u32 s12, s12, s6
	s_mul_i32 s6, s10, s21
	s_addc_u32 s13, s13, s7
	s_ashr_i32 s7, s6, 31
	s_lshl_b64 s[6:7], s[6:7], 4
	s_add_u32 s33, s9, s6
	s_mul_i32 s6, s8, s17
	s_addc_u32 s40, s20, s7
	s_ashr_i32 s7, s6, 31
	s_lshl_b64 s[6:7], s[6:7], 4
	s_add_u32 s41, s12, s6
	s_addc_u32 s42, s13, s7
	s_lshr_b32 s4, s4, 16
	s_mul_i32 s4, s4, s5
	v_mul_lo_u32 v1, s4, v34
	v_mul_u32_u24_e32 v35, s5, v35
	v_add3_u32 v0, v1, v35, v0
	v_mov_b32_e32 v1, 0x800
	v_lshl_add_u32 v64, v0, 4, v1
	s_add_i32 s43, s11, 1
	s_lshl_b32 s44, s58, 1
	s_lshl_b32 s45, s58, 2
	;; [unrolled: 1-line block ×3, first 2 shown]
	s_branch .LBB73_80
.LBB73_79:                              ;   in Loop: Header=BB73_80 Depth=1
	s_or_b64 exec, exec, s[4:5]
	s_add_i32 s43, s43, -1
	s_cmp_eq_u32 s43, 0
	v_add_u32_e32 v34, s59, v34
	s_cbranch_scc1 .LBB73_144
.LBB73_80:                              ; =>This Inner Loop Header: Depth=1
	v_cmp_gt_i32_e32 vcc, s60, v34
	v_ashrrev_i32_e32 v35, 31, v34
	s_and_saveexec_b64 s[6:7], vcc
	s_cbranch_execz .LBB73_82
; %bb.81:                               ;   in Loop: Header=BB73_80 Depth=1
	v_lshlrev_b64 v[0:1], 4, v[34:35]
	s_waitcnt vmcnt(0)
	v_mov_b32_e32 v30, s40
	v_add_co_u32_e64 v0, s[4:5], s33, v0
	v_addc_co_u32_e64 v1, s[4:5], v30, v1, s[4:5]
	global_load_dwordx4 v[30:33], v[0:1], off
.LBB73_82:                              ;   in Loop: Header=BB73_80 Depth=1
	s_or_b64 exec, exec, s[6:7]
	v_add_u32_e32 v0, s58, v34
	v_cmp_gt_i32_e64 s[4:5], s60, v0
	v_ashrrev_i32_e32 v1, 31, v0
	s_and_saveexec_b64 s[8:9], s[4:5]
	s_cbranch_execz .LBB73_84
; %bb.83:                               ;   in Loop: Header=BB73_80 Depth=1
	s_waitcnt vmcnt(0)
	v_lshlrev_b64 v[26:27], 4, v[0:1]
	v_mov_b32_e32 v28, s40
	v_add_co_u32_e64 v26, s[6:7], s33, v26
	v_addc_co_u32_e64 v27, s[6:7], v28, v27, s[6:7]
	global_load_dwordx4 v[26:29], v[26:27], off
.LBB73_84:                              ;   in Loop: Header=BB73_80 Depth=1
	s_or_b64 exec, exec, s[8:9]
	v_add_u32_e32 v36, s44, v34
	v_add_u32_e32 v39, s58, v0
	v_cmp_gt_i32_e64 s[6:7], s60, v39
	v_ashrrev_i32_e32 v37, 31, v36
	s_and_saveexec_b64 s[10:11], s[6:7]
	s_cbranch_execz .LBB73_86
; %bb.85:                               ;   in Loop: Header=BB73_80 Depth=1
	s_waitcnt vmcnt(0)
	v_lshlrev_b64 v[22:23], 4, v[36:37]
	v_mov_b32_e32 v24, s40
	v_add_co_u32_e64 v22, s[8:9], s33, v22
	v_addc_co_u32_e64 v23, s[8:9], v24, v23, s[8:9]
	global_load_dwordx4 v[22:25], v[22:23], off
.LBB73_86:                              ;   in Loop: Header=BB73_80 Depth=1
	s_or_b64 exec, exec, s[10:11]
	v_add_u32_e32 v38, s61, v34
	;; [unrolled: 15-line block ×7, first 2 shown]
	v_add_u32_e32 v44, s58, v44
	v_cmp_gt_i32_e64 s[28:29], s60, v44
	v_ashrrev_i32_e32 v63, 31, v62
	s_and_saveexec_b64 s[20:21], s[28:29]
	s_cbranch_execz .LBB73_98
; %bb.97:                               ;   in Loop: Header=BB73_80 Depth=1
	v_lshlrev_b64 v[48:49], 4, v[62:63]
	v_mov_b32_e32 v45, s40
	v_add_co_u32_e64 v48, s[16:17], s33, v48
	v_addc_co_u32_e64 v49, s[16:17], v45, v49, s[16:17]
	global_load_dwordx4 v[48:51], v[48:49], off
	s_waitcnt vmcnt(0)
	ds_write2_b64 v64, v[48:49], v[50:51] offset1:1
.LBB73_98:                              ;   in Loop: Header=BB73_80 Depth=1
	s_or_b64 exec, exec, s[20:21]
	v_add_u32_e32 v60, s65, v34
	v_add_u32_e32 v44, s58, v44
	v_cmp_gt_i32_e64 s[34:35], s60, v44
	v_ashrrev_i32_e32 v61, 31, v60
	s_and_saveexec_b64 s[20:21], s[34:35]
	s_cbranch_execz .LBB73_100
; %bb.99:                               ;   in Loop: Header=BB73_80 Depth=1
	v_lshlrev_b64 v[48:49], 4, v[60:61]
	v_mov_b32_e32 v45, s40
	v_add_co_u32_e64 v48, s[16:17], s33, v48
	v_addc_co_u32_e64 v49, s[16:17], v45, v49, s[16:17]
	global_load_dwordx4 v[48:51], v[48:49], off
	s_waitcnt vmcnt(0)
	buffer_store_dword v51, off, s[0:3], 0 offset:12
	buffer_store_dword v50, off, s[0:3], 0 offset:8
	;; [unrolled: 1-line block ×3, first 2 shown]
	buffer_store_dword v48, off, s[0:3], 0
.LBB73_100:                             ;   in Loop: Header=BB73_80 Depth=1
	s_or_b64 exec, exec, s[20:21]
	v_add_u32_e32 v58, s66, v34
	v_add_u32_e32 v44, s58, v44
	v_cmp_gt_i32_e64 s[30:31], s60, v44
	v_ashrrev_i32_e32 v59, 31, v58
	s_and_saveexec_b64 s[20:21], s[30:31]
	s_cbranch_execz .LBB73_102
; %bb.101:                              ;   in Loop: Header=BB73_80 Depth=1
	v_lshlrev_b64 v[48:49], 4, v[58:59]
	v_mov_b32_e32 v45, s40
	v_add_co_u32_e64 v48, s[16:17], s33, v48
	v_addc_co_u32_e64 v49, s[16:17], v45, v49, s[16:17]
	global_load_dwordx4 v[48:51], v[48:49], off
	s_waitcnt vmcnt(0)
	buffer_store_dword v51, off, s[0:3], 0 offset:28
	buffer_store_dword v50, off, s[0:3], 0 offset:24
	buffer_store_dword v49, off, s[0:3], 0 offset:20
	buffer_store_dword v48, off, s[0:3], 0 offset:16
.LBB73_102:                             ;   in Loop: Header=BB73_80 Depth=1
	s_or_b64 exec, exec, s[20:21]
	v_add_u32_e32 v54, s67, v34
	v_add_u32_e32 v44, s58, v44
	v_cmp_gt_i32_e64 s[26:27], s60, v44
	v_ashrrev_i32_e32 v55, 31, v54
	s_and_saveexec_b64 s[20:21], s[26:27]
	s_cbranch_execz .LBB73_104
; %bb.103:                              ;   in Loop: Header=BB73_80 Depth=1
	v_lshlrev_b64 v[48:49], 4, v[54:55]
	v_mov_b32_e32 v45, s40
	v_add_co_u32_e64 v48, s[16:17], s33, v48
	v_addc_co_u32_e64 v49, s[16:17], v45, v49, s[16:17]
	global_load_dwordx4 v[48:51], v[48:49], off
	s_waitcnt vmcnt(0)
	buffer_store_dword v51, off, s[0:3], 0 offset:44
	buffer_store_dword v50, off, s[0:3], 0 offset:40
	buffer_store_dword v49, off, s[0:3], 0 offset:36
	buffer_store_dword v48, off, s[0:3], 0 offset:32
.LBB73_104:                             ;   in Loop: Header=BB73_80 Depth=1
	s_or_b64 exec, exec, s[20:21]
	v_add_u32_e32 v52, s68, v34
	v_add_u32_e32 v44, s58, v44
	v_cmp_gt_i32_e64 s[24:25], s60, v44
	v_ashrrev_i32_e32 v53, 31, v52
	s_and_saveexec_b64 s[20:21], s[24:25]
	s_cbranch_execz .LBB73_106
; %bb.105:                              ;   in Loop: Header=BB73_80 Depth=1
	v_lshlrev_b64 v[48:49], 4, v[52:53]
	v_mov_b32_e32 v45, s40
	v_add_co_u32_e64 v48, s[16:17], s33, v48
	v_addc_co_u32_e64 v49, s[16:17], v45, v49, s[16:17]
	global_load_dwordx4 v[48:51], v[48:49], off
	s_waitcnt vmcnt(0)
	buffer_store_dword v51, off, s[0:3], 0 offset:60
	buffer_store_dword v50, off, s[0:3], 0 offset:56
	buffer_store_dword v49, off, s[0:3], 0 offset:52
	buffer_store_dword v48, off, s[0:3], 0 offset:48
.LBB73_106:                             ;   in Loop: Header=BB73_80 Depth=1
	s_or_b64 exec, exec, s[20:21]
	v_add_u32_e32 v50, s69, v34
	v_add_u32_e32 v44, s58, v44
	v_cmp_gt_i32_e64 s[22:23], s60, v44
	v_ashrrev_i32_e32 v51, 31, v50
	s_and_saveexec_b64 s[20:21], s[22:23]
	s_cbranch_execz .LBB73_108
; %bb.107:                              ;   in Loop: Header=BB73_80 Depth=1
	v_lshlrev_b64 v[48:49], 4, v[50:51]
	v_mov_b32_e32 v45, s40
	v_add_co_u32_e64 v48, s[16:17], s33, v48
	v_addc_co_u32_e64 v49, s[16:17], v45, v49, s[16:17]
	global_load_dwordx4 v[66:69], v[48:49], off
	s_waitcnt vmcnt(0)
	buffer_store_dword v69, off, s[0:3], 0 offset:76
	buffer_store_dword v68, off, s[0:3], 0 offset:72
	buffer_store_dword v67, off, s[0:3], 0 offset:68
	buffer_store_dword v66, off, s[0:3], 0 offset:64
.LBB73_108:                             ;   in Loop: Header=BB73_80 Depth=1
	s_or_b64 exec, exec, s[20:21]
	v_add_u32_e32 v48, s70, v34
	v_add_u32_e32 v45, s58, v44
	v_cmp_gt_i32_e64 s[20:21], s60, v45
	v_ashrrev_i32_e32 v49, 31, v48
	s_and_saveexec_b64 s[36:37], s[20:21]
	s_cbranch_execz .LBB73_110
; %bb.109:                              ;   in Loop: Header=BB73_80 Depth=1
	v_lshlrev_b64 v[66:67], 4, v[48:49]
	v_mov_b32_e32 v44, s40
	v_add_co_u32_e64 v66, s[16:17], s33, v66
	v_addc_co_u32_e64 v67, s[16:17], v44, v67, s[16:17]
	global_load_dwordx4 v[66:69], v[66:67], off
	s_waitcnt vmcnt(0)
	buffer_store_dword v69, off, s[0:3], 0 offset:92
	buffer_store_dword v68, off, s[0:3], 0 offset:88
	buffer_store_dword v67, off, s[0:3], 0 offset:84
	buffer_store_dword v66, off, s[0:3], 0 offset:80
.LBB73_110:                             ;   in Loop: Header=BB73_80 Depth=1
	s_or_b64 exec, exec, s[36:37]
	v_add_u32_e32 v44, s71, v34
	v_add_u32_e32 v45, s58, v45
	v_cmp_gt_i32_e64 s[16:17], s60, v45
	v_ashrrev_i32_e32 v45, 31, v44
	s_and_saveexec_b64 s[38:39], s[16:17]
	s_cbranch_execnz .LBB73_127
; %bb.111:                              ;   in Loop: Header=BB73_80 Depth=1
	s_or_b64 exec, exec, s[38:39]
	s_and_saveexec_b64 s[36:37], vcc
	s_cbranch_execnz .LBB73_128
.LBB73_112:                             ;   in Loop: Header=BB73_80 Depth=1
	s_or_b64 exec, exec, s[36:37]
	s_and_saveexec_b64 s[36:37], s[4:5]
	s_cbranch_execnz .LBB73_129
.LBB73_113:                             ;   in Loop: Header=BB73_80 Depth=1
	s_or_b64 exec, exec, s[36:37]
	s_and_saveexec_b64 s[4:5], s[6:7]
	s_cbranch_execnz .LBB73_130
.LBB73_114:                             ;   in Loop: Header=BB73_80 Depth=1
	s_or_b64 exec, exec, s[4:5]
	s_and_saveexec_b64 s[4:5], s[8:9]
	s_cbranch_execnz .LBB73_131
.LBB73_115:                             ;   in Loop: Header=BB73_80 Depth=1
	s_or_b64 exec, exec, s[4:5]
	s_and_saveexec_b64 s[4:5], s[10:11]
	s_cbranch_execnz .LBB73_132
.LBB73_116:                             ;   in Loop: Header=BB73_80 Depth=1
	s_or_b64 exec, exec, s[4:5]
	s_and_saveexec_b64 s[4:5], s[12:13]
	s_cbranch_execnz .LBB73_133
.LBB73_117:                             ;   in Loop: Header=BB73_80 Depth=1
	s_or_b64 exec, exec, s[4:5]
	s_and_saveexec_b64 s[4:5], s[14:15]
	s_cbranch_execnz .LBB73_134
.LBB73_118:                             ;   in Loop: Header=BB73_80 Depth=1
	s_or_b64 exec, exec, s[4:5]
	s_and_saveexec_b64 s[4:5], s[18:19]
	s_cbranch_execnz .LBB73_135
.LBB73_119:                             ;   in Loop: Header=BB73_80 Depth=1
	s_or_b64 exec, exec, s[4:5]
	s_and_saveexec_b64 s[4:5], s[28:29]
	s_cbranch_execnz .LBB73_136
.LBB73_120:                             ;   in Loop: Header=BB73_80 Depth=1
	s_or_b64 exec, exec, s[4:5]
	s_and_saveexec_b64 s[4:5], s[34:35]
	s_cbranch_execnz .LBB73_137
.LBB73_121:                             ;   in Loop: Header=BB73_80 Depth=1
	s_or_b64 exec, exec, s[4:5]
	s_and_saveexec_b64 s[4:5], s[30:31]
	s_cbranch_execnz .LBB73_138
.LBB73_122:                             ;   in Loop: Header=BB73_80 Depth=1
	s_or_b64 exec, exec, s[4:5]
	s_and_saveexec_b64 s[4:5], s[26:27]
	s_cbranch_execnz .LBB73_139
.LBB73_123:                             ;   in Loop: Header=BB73_80 Depth=1
	s_or_b64 exec, exec, s[4:5]
	s_and_saveexec_b64 s[4:5], s[24:25]
	s_cbranch_execnz .LBB73_140
.LBB73_124:                             ;   in Loop: Header=BB73_80 Depth=1
	s_or_b64 exec, exec, s[4:5]
	s_and_saveexec_b64 s[4:5], s[22:23]
	s_cbranch_execnz .LBB73_141
.LBB73_125:                             ;   in Loop: Header=BB73_80 Depth=1
	s_or_b64 exec, exec, s[4:5]
	s_and_saveexec_b64 s[4:5], s[20:21]
	s_cbranch_execnz .LBB73_142
.LBB73_126:                             ;   in Loop: Header=BB73_80 Depth=1
	s_or_b64 exec, exec, s[4:5]
	s_and_saveexec_b64 s[4:5], s[16:17]
	s_cbranch_execz .LBB73_79
	s_branch .LBB73_143
.LBB73_127:                             ;   in Loop: Header=BB73_80 Depth=1
	v_lshlrev_b64 v[66:67], 4, v[44:45]
	v_mov_b32_e32 v65, s40
	v_add_co_u32_e64 v66, s[36:37], s33, v66
	v_addc_co_u32_e64 v67, s[36:37], v65, v67, s[36:37]
	global_load_dwordx4 v[66:69], v[66:67], off
	s_waitcnt vmcnt(0)
	buffer_store_dword v69, off, s[0:3], 0 offset:108
	buffer_store_dword v68, off, s[0:3], 0 offset:104
	;; [unrolled: 1-line block ×4, first 2 shown]
	s_or_b64 exec, exec, s[38:39]
	s_and_saveexec_b64 s[36:37], vcc
	s_cbranch_execz .LBB73_112
.LBB73_128:                             ;   in Loop: Header=BB73_80 Depth=1
	v_lshlrev_b64 v[66:67], 4, v[34:35]
	v_mov_b32_e32 v35, s42
	v_add_co_u32_e32 v66, vcc, s41, v66
	v_addc_co_u32_e32 v67, vcc, v35, v67, vcc
	s_waitcnt vmcnt(0)
	global_store_dwordx4 v[66:67], v[30:33], off
	s_or_b64 exec, exec, s[36:37]
	s_and_saveexec_b64 s[36:37], s[4:5]
	s_cbranch_execz .LBB73_113
.LBB73_129:                             ;   in Loop: Header=BB73_80 Depth=1
	v_lshlrev_b64 v[0:1], 4, v[0:1]
	v_mov_b32_e32 v35, s42
	v_add_co_u32_e32 v0, vcc, s41, v0
	v_addc_co_u32_e32 v1, vcc, v35, v1, vcc
	s_waitcnt vmcnt(0)
	global_store_dwordx4 v[0:1], v[26:29], off
	s_or_b64 exec, exec, s[36:37]
	s_and_saveexec_b64 s[4:5], s[6:7]
	s_cbranch_execz .LBB73_114
.LBB73_130:                             ;   in Loop: Header=BB73_80 Depth=1
	v_lshlrev_b64 v[0:1], 4, v[36:37]
	v_mov_b32_e32 v35, s42
	v_add_co_u32_e32 v0, vcc, s41, v0
	v_addc_co_u32_e32 v1, vcc, v35, v1, vcc
	s_waitcnt vmcnt(0)
	global_store_dwordx4 v[0:1], v[22:25], off
	s_or_b64 exec, exec, s[4:5]
	s_and_saveexec_b64 s[4:5], s[8:9]
	s_cbranch_execz .LBB73_115
.LBB73_131:                             ;   in Loop: Header=BB73_80 Depth=1
	v_lshlrev_b64 v[0:1], 4, v[38:39]
	v_mov_b32_e32 v35, s42
	v_add_co_u32_e32 v0, vcc, s41, v0
	v_addc_co_u32_e32 v1, vcc, v35, v1, vcc
	s_waitcnt vmcnt(0)
	global_store_dwordx4 v[0:1], v[18:21], off
	s_or_b64 exec, exec, s[4:5]
	s_and_saveexec_b64 s[4:5], s[10:11]
	s_cbranch_execz .LBB73_116
.LBB73_132:                             ;   in Loop: Header=BB73_80 Depth=1
	v_lshlrev_b64 v[0:1], 4, v[40:41]
	v_mov_b32_e32 v35, s42
	v_add_co_u32_e32 v0, vcc, s41, v0
	v_addc_co_u32_e32 v1, vcc, v35, v1, vcc
	s_waitcnt vmcnt(0)
	global_store_dwordx4 v[0:1], v[14:17], off
	s_or_b64 exec, exec, s[4:5]
	s_and_saveexec_b64 s[4:5], s[12:13]
	s_cbranch_execz .LBB73_117
.LBB73_133:                             ;   in Loop: Header=BB73_80 Depth=1
	v_lshlrev_b64 v[0:1], 4, v[42:43]
	v_mov_b32_e32 v35, s42
	v_add_co_u32_e32 v0, vcc, s41, v0
	v_addc_co_u32_e32 v1, vcc, v35, v1, vcc
	s_waitcnt vmcnt(0)
	global_store_dwordx4 v[0:1], v[10:13], off
	s_or_b64 exec, exec, s[4:5]
	s_and_saveexec_b64 s[4:5], s[14:15]
	s_cbranch_execz .LBB73_118
.LBB73_134:                             ;   in Loop: Header=BB73_80 Depth=1
	v_lshlrev_b64 v[0:1], 4, v[46:47]
	v_mov_b32_e32 v35, s42
	v_add_co_u32_e32 v0, vcc, s41, v0
	v_addc_co_u32_e32 v1, vcc, v35, v1, vcc
	s_waitcnt vmcnt(0)
	global_store_dwordx4 v[0:1], v[6:9], off
	s_or_b64 exec, exec, s[4:5]
	s_and_saveexec_b64 s[4:5], s[18:19]
	s_cbranch_execz .LBB73_119
.LBB73_135:                             ;   in Loop: Header=BB73_80 Depth=1
	v_lshlrev_b64 v[0:1], 4, v[56:57]
	v_mov_b32_e32 v35, s42
	v_add_co_u32_e32 v0, vcc, s41, v0
	v_addc_co_u32_e32 v1, vcc, v35, v1, vcc
	s_waitcnt vmcnt(0)
	global_store_dwordx4 v[0:1], v[2:5], off
	s_or_b64 exec, exec, s[4:5]
	s_and_saveexec_b64 s[4:5], s[28:29]
	s_cbranch_execz .LBB73_120
.LBB73_136:                             ;   in Loop: Header=BB73_80 Depth=1
	ds_read2_b64 v[36:39], v64 offset1:1
	v_lshlrev_b64 v[0:1], 4, v[62:63]
	v_mov_b32_e32 v35, s42
	v_add_co_u32_e32 v0, vcc, s41, v0
	v_addc_co_u32_e32 v1, vcc, v35, v1, vcc
	s_waitcnt lgkmcnt(0)
	global_store_dwordx4 v[0:1], v[36:39], off
	s_or_b64 exec, exec, s[4:5]
	s_and_saveexec_b64 s[4:5], s[34:35]
	s_cbranch_execz .LBB73_121
.LBB73_137:                             ;   in Loop: Header=BB73_80 Depth=1
	buffer_load_dword v36, off, s[0:3], 0
	buffer_load_dword v37, off, s[0:3], 0 offset:4
	buffer_load_dword v38, off, s[0:3], 0 offset:8
	;; [unrolled: 1-line block ×3, first 2 shown]
	v_lshlrev_b64 v[0:1], 4, v[60:61]
	v_mov_b32_e32 v35, s42
	v_add_co_u32_e32 v0, vcc, s41, v0
	v_addc_co_u32_e32 v1, vcc, v35, v1, vcc
	s_waitcnt vmcnt(0)
	global_store_dwordx4 v[0:1], v[36:39], off
	s_or_b64 exec, exec, s[4:5]
	s_and_saveexec_b64 s[4:5], s[30:31]
	s_cbranch_execz .LBB73_122
.LBB73_138:                             ;   in Loop: Header=BB73_80 Depth=1
	buffer_load_dword v36, off, s[0:3], 0 offset:16
	buffer_load_dword v37, off, s[0:3], 0 offset:20
	;; [unrolled: 1-line block ×4, first 2 shown]
	v_lshlrev_b64 v[0:1], 4, v[58:59]
	v_mov_b32_e32 v35, s42
	v_add_co_u32_e32 v0, vcc, s41, v0
	v_addc_co_u32_e32 v1, vcc, v35, v1, vcc
	s_waitcnt vmcnt(0)
	global_store_dwordx4 v[0:1], v[36:39], off
	s_or_b64 exec, exec, s[4:5]
	s_and_saveexec_b64 s[4:5], s[26:27]
	s_cbranch_execz .LBB73_123
.LBB73_139:                             ;   in Loop: Header=BB73_80 Depth=1
	buffer_load_dword v36, off, s[0:3], 0 offset:32
	buffer_load_dword v37, off, s[0:3], 0 offset:36
	;; [unrolled: 1-line block ×4, first 2 shown]
	v_lshlrev_b64 v[0:1], 4, v[54:55]
	v_mov_b32_e32 v35, s42
	v_add_co_u32_e32 v0, vcc, s41, v0
	v_addc_co_u32_e32 v1, vcc, v35, v1, vcc
	s_waitcnt vmcnt(0)
	global_store_dwordx4 v[0:1], v[36:39], off
	s_or_b64 exec, exec, s[4:5]
	s_and_saveexec_b64 s[4:5], s[24:25]
	s_cbranch_execz .LBB73_124
.LBB73_140:                             ;   in Loop: Header=BB73_80 Depth=1
	buffer_load_dword v36, off, s[0:3], 0 offset:48
	buffer_load_dword v37, off, s[0:3], 0 offset:52
	;; [unrolled: 1-line block ×4, first 2 shown]
	v_lshlrev_b64 v[0:1], 4, v[52:53]
	v_mov_b32_e32 v35, s42
	v_add_co_u32_e32 v0, vcc, s41, v0
	v_addc_co_u32_e32 v1, vcc, v35, v1, vcc
	s_waitcnt vmcnt(0)
	global_store_dwordx4 v[0:1], v[36:39], off
	s_or_b64 exec, exec, s[4:5]
	s_and_saveexec_b64 s[4:5], s[22:23]
	s_cbranch_execz .LBB73_125
.LBB73_141:                             ;   in Loop: Header=BB73_80 Depth=1
	buffer_load_dword v36, off, s[0:3], 0 offset:64
	buffer_load_dword v37, off, s[0:3], 0 offset:68
	;; [unrolled: 1-line block ×4, first 2 shown]
	v_lshlrev_b64 v[0:1], 4, v[50:51]
	v_mov_b32_e32 v35, s42
	v_add_co_u32_e32 v0, vcc, s41, v0
	v_addc_co_u32_e32 v1, vcc, v35, v1, vcc
	s_waitcnt vmcnt(0)
	global_store_dwordx4 v[0:1], v[36:39], off
	s_or_b64 exec, exec, s[4:5]
	s_and_saveexec_b64 s[4:5], s[20:21]
	s_cbranch_execz .LBB73_126
.LBB73_142:                             ;   in Loop: Header=BB73_80 Depth=1
	buffer_load_dword v36, off, s[0:3], 0 offset:80
	buffer_load_dword v37, off, s[0:3], 0 offset:84
	;; [unrolled: 1-line block ×4, first 2 shown]
	v_lshlrev_b64 v[0:1], 4, v[48:49]
	v_mov_b32_e32 v35, s42
	v_add_co_u32_e32 v0, vcc, s41, v0
	v_addc_co_u32_e32 v1, vcc, v35, v1, vcc
	s_waitcnt vmcnt(0)
	global_store_dwordx4 v[0:1], v[36:39], off
	s_or_b64 exec, exec, s[4:5]
	s_and_saveexec_b64 s[4:5], s[16:17]
	s_cbranch_execz .LBB73_79
.LBB73_143:                             ;   in Loop: Header=BB73_80 Depth=1
	buffer_load_dword v36, off, s[0:3], 0 offset:96
	buffer_load_dword v37, off, s[0:3], 0 offset:100
	;; [unrolled: 1-line block ×4, first 2 shown]
	v_lshlrev_b64 v[0:1], 4, v[44:45]
	v_mov_b32_e32 v35, s42
	v_add_co_u32_e32 v0, vcc, s41, v0
	v_addc_co_u32_e32 v1, vcc, v35, v1, vcc
	s_waitcnt vmcnt(0)
	global_store_dwordx4 v[0:1], v[36:39], off
	s_branch .LBB73_79
.LBB73_144:
	s_endpgm
	.section	.rodata,"a",@progbits
	.p2align	6, 0x0
	.amdhsa_kernel _ZN9rocsolver6v33100L10stedc_sortI19rocblas_complex_numIdEdPS3_S4_EEviPT0_lS6_lT1_iilT2_iil
		.amdhsa_group_segment_fixed_size 10240
		.amdhsa_private_segment_fixed_size 128
		.amdhsa_kernarg_size 344
		.amdhsa_user_sgpr_count 10
		.amdhsa_user_sgpr_private_segment_buffer 1
		.amdhsa_user_sgpr_dispatch_ptr 1
		.amdhsa_user_sgpr_queue_ptr 0
		.amdhsa_user_sgpr_kernarg_segment_ptr 1
		.amdhsa_user_sgpr_dispatch_id 0
		.amdhsa_user_sgpr_flat_scratch_init 1
		.amdhsa_user_sgpr_kernarg_preload_length 0
		.amdhsa_user_sgpr_kernarg_preload_offset 0
		.amdhsa_user_sgpr_private_segment_size 0
		.amdhsa_uses_dynamic_stack 0
		.amdhsa_system_sgpr_private_segment_wavefront_offset 1
		.amdhsa_system_sgpr_workgroup_id_x 1
		.amdhsa_system_sgpr_workgroup_id_y 1
		.amdhsa_system_sgpr_workgroup_id_z 0
		.amdhsa_system_sgpr_workgroup_info 0
		.amdhsa_system_vgpr_workitem_id 2
		.amdhsa_next_free_vgpr 70
		.amdhsa_next_free_sgpr 79
		.amdhsa_accum_offset 72
		.amdhsa_reserve_vcc 1
		.amdhsa_reserve_flat_scratch 0
		.amdhsa_float_round_mode_32 0
		.amdhsa_float_round_mode_16_64 0
		.amdhsa_float_denorm_mode_32 3
		.amdhsa_float_denorm_mode_16_64 3
		.amdhsa_dx10_clamp 1
		.amdhsa_ieee_mode 1
		.amdhsa_fp16_overflow 0
		.amdhsa_tg_split 0
		.amdhsa_exception_fp_ieee_invalid_op 0
		.amdhsa_exception_fp_denorm_src 0
		.amdhsa_exception_fp_ieee_div_zero 0
		.amdhsa_exception_fp_ieee_overflow 0
		.amdhsa_exception_fp_ieee_underflow 0
		.amdhsa_exception_fp_ieee_inexact 0
		.amdhsa_exception_int_div_zero 0
	.end_amdhsa_kernel
	.section	.text._ZN9rocsolver6v33100L10stedc_sortI19rocblas_complex_numIdEdPS3_S4_EEviPT0_lS6_lT1_iilT2_iil,"axG",@progbits,_ZN9rocsolver6v33100L10stedc_sortI19rocblas_complex_numIdEdPS3_S4_EEviPT0_lS6_lT1_iilT2_iil,comdat
.Lfunc_end73:
	.size	_ZN9rocsolver6v33100L10stedc_sortI19rocblas_complex_numIdEdPS3_S4_EEviPT0_lS6_lT1_iilT2_iil, .Lfunc_end73-_ZN9rocsolver6v33100L10stedc_sortI19rocblas_complex_numIdEdPS3_S4_EEviPT0_lS6_lT1_iilT2_iil
                                        ; -- End function
	.section	.AMDGPU.csdata,"",@progbits
; Kernel info:
; codeLenInByte = 5828
; NumSgprs: 83
; NumVgprs: 70
; NumAgprs: 0
; TotalNumVgprs: 70
; ScratchSize: 128
; MemoryBound: 1
; FloatMode: 240
; IeeeMode: 1
; LDSByteSize: 10240 bytes/workgroup (compile time only)
; SGPRBlocks: 10
; VGPRBlocks: 8
; NumSGPRsForWavesPerEU: 83
; NumVGPRsForWavesPerEU: 70
; AccumOffset: 72
; Occupancy: 7
; WaveLimiterHint : 0
; COMPUTE_PGM_RSRC2:SCRATCH_EN: 1
; COMPUTE_PGM_RSRC2:USER_SGPR: 10
; COMPUTE_PGM_RSRC2:TRAP_HANDLER: 0
; COMPUTE_PGM_RSRC2:TGID_X_EN: 1
; COMPUTE_PGM_RSRC2:TGID_Y_EN: 1
; COMPUTE_PGM_RSRC2:TGID_Z_EN: 0
; COMPUTE_PGM_RSRC2:TIDIG_COMP_CNT: 2
; COMPUTE_PGM_RSRC3_GFX90A:ACCUM_OFFSET: 17
; COMPUTE_PGM_RSRC3_GFX90A:TG_SPLIT: 0
	.text
	.p2alignl 6, 3212836864
	.fill 256, 4, 3212836864
	.type	__hip_cuid_3f52e04c5c11a58b,@object ; @__hip_cuid_3f52e04c5c11a58b
	.section	.bss,"aw",@nobits
	.globl	__hip_cuid_3f52e04c5c11a58b
__hip_cuid_3f52e04c5c11a58b:
	.byte	0                               ; 0x0
	.size	__hip_cuid_3f52e04c5c11a58b, 1

	.type	llvm.amdgcn.lds.offset.table,@object ; @llvm.amdgcn.lds.offset.table
	.section	.data.rel.ro,"aw",@progbits
	.p2align	4, 0x0
llvm.amdgcn.lds.offset.table:
	.long	0+16
	.long	0+20
	.long	0
	.long	0+24
	.long	0+28
	;; [unrolled: 1-line block ×8, first 2 shown]
	.long	0
	.long	0+24
	.long	0+28
	;; [unrolled: 1-line block ×6, first 2 shown]
	.size	llvm.amdgcn.lds.offset.table, 72

	.ident	"AMD clang version 19.0.0git (https://github.com/RadeonOpenCompute/llvm-project roc-6.4.0 25133 c7fe45cf4b819c5991fe208aaa96edf142730f1d)"
	.section	".note.GNU-stack","",@progbits
	.addrsig
	.addrsig_sym __hip_cuid_3f52e04c5c11a58b
	.amdgpu_metadata
---
amdhsa.kernels:
  - .agpr_count:     0
    .args:
      - .offset:         0
        .size:           4
        .value_kind:     by_value
      - .offset:         4
        .size:           4
        .value_kind:     by_value
      - .offset:         8
        .size:           4
        .value_kind:     by_value
      - .address_space:  global
        .offset:         16
        .size:           8
        .value_kind:     global_buffer
      - .offset:         24
        .size:           4
        .value_kind:     hidden_block_count_x
      - .offset:         28
        .size:           4
        .value_kind:     hidden_block_count_y
      - .offset:         32
        .size:           4
        .value_kind:     hidden_block_count_z
      - .offset:         36
        .size:           2
        .value_kind:     hidden_group_size_x
      - .offset:         38
        .size:           2
        .value_kind:     hidden_group_size_y
      - .offset:         40
        .size:           2
        .value_kind:     hidden_group_size_z
      - .offset:         42
        .size:           2
        .value_kind:     hidden_remainder_x
      - .offset:         44
        .size:           2
        .value_kind:     hidden_remainder_y
      - .offset:         46
        .size:           2
        .value_kind:     hidden_remainder_z
      - .offset:         64
        .size:           8
        .value_kind:     hidden_global_offset_x
      - .offset:         72
        .size:           8
        .value_kind:     hidden_global_offset_y
      - .offset:         80
        .size:           8
        .value_kind:     hidden_global_offset_z
      - .offset:         88
        .size:           2
        .value_kind:     hidden_grid_dims
    .group_segment_fixed_size: 0
    .kernarg_segment_align: 8
    .kernarg_segment_size: 280
    .language:       OpenCL C
    .language_version:
      - 2
      - 0
    .max_flat_workgroup_size: 512
    .name:           _ZN9rocsolver6v33100L19stedc_update_splitsEiiiPi
    .private_segment_fixed_size: 0
    .sgpr_count:     30
    .sgpr_spill_count: 0
    .symbol:         _ZN9rocsolver6v33100L19stedc_update_splitsEiiiPi.kd
    .uniform_work_group_size: 1
    .uses_dynamic_stack: false
    .vgpr_count:     18
    .vgpr_spill_count: 0
    .wavefront_size: 64
  - .agpr_count:     0
    .args:
      - .address_space:  global
        .offset:         0
        .size:           8
        .value_kind:     global_buffer
      - .offset:         8
        .size:           4
        .value_kind:     by_value
      - .offset:         12
        .size:           4
        .value_kind:     by_value
      - .offset:         16
        .size:           4
        .value_kind:     by_value
      - .offset:         24
        .size:           4
        .value_kind:     hidden_block_count_x
      - .offset:         28
        .size:           4
        .value_kind:     hidden_block_count_y
      - .offset:         32
        .size:           4
        .value_kind:     hidden_block_count_z
      - .offset:         36
        .size:           2
        .value_kind:     hidden_group_size_x
      - .offset:         38
        .size:           2
        .value_kind:     hidden_group_size_y
      - .offset:         40
        .size:           2
        .value_kind:     hidden_group_size_z
      - .offset:         42
        .size:           2
        .value_kind:     hidden_remainder_x
      - .offset:         44
        .size:           2
        .value_kind:     hidden_remainder_y
      - .offset:         46
        .size:           2
        .value_kind:     hidden_remainder_z
      - .offset:         64
        .size:           8
        .value_kind:     hidden_global_offset_x
      - .offset:         72
        .size:           8
        .value_kind:     hidden_global_offset_y
      - .offset:         80
        .size:           8
        .value_kind:     hidden_global_offset_z
      - .offset:         88
        .size:           2
        .value_kind:     hidden_grid_dims
    .group_segment_fixed_size: 0
    .kernarg_segment_align: 8
    .kernarg_segment_size: 280
    .language:       OpenCL C
    .language_version:
      - 2
      - 0
    .max_flat_workgroup_size: 1024
    .name:           _ZN9rocsolver6v33100L10reset_infoIiiiEEvPT_T0_T1_S4_
    .private_segment_fixed_size: 0
    .sgpr_count:     12
    .sgpr_spill_count: 0
    .symbol:         _ZN9rocsolver6v33100L10reset_infoIiiiEEvPT_T0_T1_S4_.kd
    .uniform_work_group_size: 1
    .uses_dynamic_stack: false
    .vgpr_count:     4
    .vgpr_spill_count: 0
    .wavefront_size: 64
  - .agpr_count:     0
    .args:
      - .address_space:  global
        .offset:         0
        .size:           8
        .value_kind:     global_buffer
      - .offset:         8
        .size:           8
        .value_kind:     by_value
      - .offset:         16
        .size:           4
        .value_kind:     by_value
      - .offset:         20
        .size:           4
        .value_kind:     by_value
      - .offset:         24
        .size:           4
        .value_kind:     hidden_block_count_x
      - .offset:         28
        .size:           4
        .value_kind:     hidden_block_count_y
      - .offset:         32
        .size:           4
        .value_kind:     hidden_block_count_z
      - .offset:         36
        .size:           2
        .value_kind:     hidden_group_size_x
      - .offset:         38
        .size:           2
        .value_kind:     hidden_group_size_y
      - .offset:         40
        .size:           2
        .value_kind:     hidden_group_size_z
      - .offset:         42
        .size:           2
        .value_kind:     hidden_remainder_x
      - .offset:         44
        .size:           2
        .value_kind:     hidden_remainder_y
      - .offset:         46
        .size:           2
        .value_kind:     hidden_remainder_z
      - .offset:         64
        .size:           8
        .value_kind:     hidden_global_offset_x
      - .offset:         72
        .size:           8
        .value_kind:     hidden_global_offset_y
      - .offset:         80
        .size:           8
        .value_kind:     hidden_global_offset_z
      - .offset:         88
        .size:           2
        .value_kind:     hidden_grid_dims
    .group_segment_fixed_size: 0
    .kernarg_segment_align: 8
    .kernarg_segment_size: 280
    .language:       OpenCL C
    .language_version:
      - 2
      - 0
    .max_flat_workgroup_size: 1024
    .name:           _ZN9rocsolver6v33100L16reset_batch_infoIfiiPfEEvT2_lT0_T1_
    .private_segment_fixed_size: 0
    .sgpr_count:     16
    .sgpr_spill_count: 0
    .symbol:         _ZN9rocsolver6v33100L16reset_batch_infoIfiiPfEEvT2_lT0_T1_.kd
    .uniform_work_group_size: 1
    .uses_dynamic_stack: false
    .vgpr_count:     4
    .vgpr_spill_count: 0
    .wavefront_size: 64
  - .agpr_count:     0
    .args:
      - .offset:         0
        .size:           4
        .value_kind:     by_value
      - .address_space:  global
        .offset:         8
        .size:           8
        .value_kind:     global_buffer
      - .offset:         16
        .size:           8
        .value_kind:     by_value
      - .address_space:  global
        .offset:         24
        .size:           8
        .value_kind:     global_buffer
      - .offset:         32
        .size:           8
        .value_kind:     by_value
      - .address_space:  global
        .offset:         40
        .size:           8
        .value_kind:     global_buffer
      - .address_space:  global
        .offset:         48
        .size:           8
        .value_kind:     global_buffer
      - .offset:         56
        .size:           4
        .value_kind:     by_value
      - .offset:         60
        .size:           4
        .value_kind:     by_value
      - .offset:         64
        .size:           4
        .value_kind:     by_value
      - .offset:         68
        .size:           4
        .value_kind:     by_value
    .group_segment_fixed_size: 0
    .kernarg_segment_align: 8
    .kernarg_segment_size: 72
    .language:       OpenCL C
    .language_version:
      - 2
      - 0
    .max_flat_workgroup_size: 1024
    .name:           _ZN9rocsolver6v33100L12sterf_kernelIfEEviPT_lS3_lPiS4_iS2_S2_S2_
    .private_segment_fixed_size: 0
    .sgpr_count:     80
    .sgpr_spill_count: 0
    .symbol:         _ZN9rocsolver6v33100L12sterf_kernelIfEEviPT_lS3_lPiS4_iS2_S2_S2_.kd
    .uniform_work_group_size: 1
    .uses_dynamic_stack: false
    .vgpr_count:     28
    .vgpr_spill_count: 0
    .wavefront_size: 64
  - .agpr_count:     0
    .args:
      - .offset:         0
        .size:           4
        .value_kind:     by_value
      - .offset:         4
        .size:           4
        .value_kind:     by_value
      - .offset:         8
        .size:           4
        .value_kind:     by_value
      - .offset:         12
        .size:           4
        .value_kind:     by_value
      - .offset:         16
        .size:           4
        .value_kind:     by_value
      - .address_space:  global
        .offset:         24
        .size:           8
        .value_kind:     global_buffer
      - .offset:         32
        .size:           8
        .value_kind:     by_value
      - .address_space:  global
        .offset:         40
        .size:           8
        .value_kind:     global_buffer
      - .offset:         48
        .size:           8
        .value_kind:     by_value
      - .address_space:  global
        .offset:         56
        .size:           8
        .value_kind:     global_buffer
      - .offset:         64
        .size:           8
        .value_kind:     by_value
      - .offset:         72
        .size:           4
        .value_kind:     by_value
      - .offset:         80
        .size:           8
        .value_kind:     by_value
      - .offset:         88
        .size:           4
        .value_kind:     by_value
      - .offset:         96
        .size:           4
        .value_kind:     hidden_block_count_x
      - .offset:         100
        .size:           4
        .value_kind:     hidden_block_count_y
      - .offset:         104
        .size:           4
        .value_kind:     hidden_block_count_z
      - .offset:         108
        .size:           2
        .value_kind:     hidden_group_size_x
      - .offset:         110
        .size:           2
        .value_kind:     hidden_group_size_y
      - .offset:         112
        .size:           2
        .value_kind:     hidden_group_size_z
      - .offset:         114
        .size:           2
        .value_kind:     hidden_remainder_x
      - .offset:         116
        .size:           2
        .value_kind:     hidden_remainder_y
      - .offset:         118
        .size:           2
        .value_kind:     hidden_remainder_z
      - .offset:         136
        .size:           8
        .value_kind:     hidden_global_offset_x
      - .offset:         144
        .size:           8
        .value_kind:     hidden_global_offset_y
      - .offset:         152
        .size:           8
        .value_kind:     hidden_global_offset_z
      - .offset:         160
        .size:           2
        .value_kind:     hidden_grid_dims
    .group_segment_fixed_size: 0
    .kernarg_segment_align: 8
    .kernarg_segment_size: 352
    .language:       OpenCL C
    .language_version:
      - 2
      - 0
    .max_flat_workgroup_size: 64
    .name:           _ZN9rocsolver6v33100L11lasr_kernelIffPfiEEv13rocblas_side_14rocblas_pivot_15rocblas_direct_T2_S6_PT0_lS8_lT1_lS6_lS6_
    .private_segment_fixed_size: 0
    .sgpr_count:     100
    .sgpr_spill_count: 10
    .symbol:         _ZN9rocsolver6v33100L11lasr_kernelIffPfiEEv13rocblas_side_14rocblas_pivot_15rocblas_direct_T2_S6_PT0_lS8_lT1_lS6_lS6_.kd
    .uniform_work_group_size: 1
    .uses_dynamic_stack: false
    .vgpr_count:     43
    .vgpr_spill_count: 0
    .wavefront_size: 64
  - .agpr_count:     0
    .args:
      - .offset:         0
        .size:           4
        .value_kind:     by_value
      - .address_space:  global
        .offset:         8
        .size:           8
        .value_kind:     global_buffer
      - .offset:         16
        .size:           4
        .value_kind:     by_value
      - .address_space:  global
        .offset:         24
        .size:           8
        .value_kind:     global_buffer
      - .offset:         32
        .size:           4
        .value_kind:     by_value
      - .offset:         40
        .size:           4
        .value_kind:     hidden_block_count_x
      - .offset:         44
        .size:           4
        .value_kind:     hidden_block_count_y
      - .offset:         48
        .size:           4
        .value_kind:     hidden_block_count_z
      - .offset:         52
        .size:           2
        .value_kind:     hidden_group_size_x
      - .offset:         54
        .size:           2
        .value_kind:     hidden_group_size_y
      - .offset:         56
        .size:           2
        .value_kind:     hidden_group_size_z
      - .offset:         58
        .size:           2
        .value_kind:     hidden_remainder_x
      - .offset:         60
        .size:           2
        .value_kind:     hidden_remainder_y
      - .offset:         62
        .size:           2
        .value_kind:     hidden_remainder_z
      - .offset:         80
        .size:           8
        .value_kind:     hidden_global_offset_x
      - .offset:         88
        .size:           8
        .value_kind:     hidden_global_offset_y
      - .offset:         96
        .size:           8
        .value_kind:     hidden_global_offset_z
      - .offset:         104
        .size:           2
        .value_kind:     hidden_grid_dims
    .group_segment_fixed_size: 0
    .kernarg_segment_align: 8
    .kernarg_segment_size: 296
    .language:       OpenCL C
    .language_version:
      - 2
      - 0
    .max_flat_workgroup_size: 1024
    .name:           _ZN9rocsolver6v33100L11swap_kernelIfiEEvT0_PT_S2_S4_S2_
    .private_segment_fixed_size: 0
    .sgpr_count:     21
    .sgpr_spill_count: 0
    .symbol:         _ZN9rocsolver6v33100L11swap_kernelIfiEEvT0_PT_S2_S4_S2_.kd
    .uniform_work_group_size: 1
    .uses_dynamic_stack: false
    .vgpr_count:     12
    .vgpr_spill_count: 0
    .wavefront_size: 64
  - .agpr_count:     36
    .args:
      - .offset:         0
        .size:           4
        .value_kind:     by_value
      - .address_space:  global
        .offset:         8
        .size:           8
        .value_kind:     global_buffer
      - .offset:         16
        .size:           8
        .value_kind:     by_value
      - .address_space:  global
        .offset:         24
        .size:           8
        .value_kind:     global_buffer
      - .offset:         32
        .size:           8
        .value_kind:     by_value
      - .address_space:  global
        .offset:         40
        .size:           8
        .value_kind:     global_buffer
      - .offset:         48
        .size:           4
        .value_kind:     by_value
      - .offset:         52
        .size:           4
        .value_kind:     by_value
      - .offset:         56
        .size:           8
        .value_kind:     by_value
      - .address_space:  global
        .offset:         64
        .size:           8
        .value_kind:     global_buffer
      - .address_space:  global
        .offset:         72
        .size:           8
        .value_kind:     global_buffer
      - .offset:         80
        .size:           4
        .value_kind:     by_value
      - .offset:         84
        .size:           4
        .value_kind:     by_value
      - .offset:         88
        .size:           4
        .value_kind:     by_value
      - .offset:         92
        .size:           4
        .value_kind:     by_value
      - .offset:         96
        .size:           4
        .value_kind:     hidden_block_count_x
      - .offset:         100
        .size:           4
        .value_kind:     hidden_block_count_y
      - .offset:         104
        .size:           4
        .value_kind:     hidden_block_count_z
      - .offset:         108
        .size:           2
        .value_kind:     hidden_group_size_x
      - .offset:         110
        .size:           2
        .value_kind:     hidden_group_size_y
      - .offset:         112
        .size:           2
        .value_kind:     hidden_group_size_z
      - .offset:         114
        .size:           2
        .value_kind:     hidden_remainder_x
      - .offset:         116
        .size:           2
        .value_kind:     hidden_remainder_y
      - .offset:         118
        .size:           2
        .value_kind:     hidden_remainder_z
      - .offset:         136
        .size:           8
        .value_kind:     hidden_global_offset_x
      - .offset:         144
        .size:           8
        .value_kind:     hidden_global_offset_y
      - .offset:         152
        .size:           8
        .value_kind:     hidden_global_offset_z
      - .offset:         160
        .size:           2
        .value_kind:     hidden_grid_dims
    .group_segment_fixed_size: 36
    .kernarg_segment_align: 8
    .kernarg_segment_size: 352
    .language:       OpenCL C
    .language_version:
      - 2
      - 0
    .max_flat_workgroup_size: 1024
    .name:           _ZN9rocsolver6v33100L12steqr_kernelIffPfEEviPT0_lS4_lT1_iilPiS4_iS3_S3_S3_
    .private_segment_fixed_size: 80
    .sgpr_count:     55
    .sgpr_spill_count: 0
    .symbol:         _ZN9rocsolver6v33100L12steqr_kernelIffPfEEviPT0_lS4_lT1_iilPiS4_iS3_S3_S3_.kd
    .uniform_work_group_size: 1
    .uses_dynamic_stack: false
    .vgpr_count:     100
    .vgpr_spill_count: 0
    .wavefront_size: 64
  - .agpr_count:     0
    .args:
      - .offset:         0
        .size:           4
        .value_kind:     by_value
      - .offset:         4
        .size:           4
        .value_kind:     by_value
      - .address_space:  global
        .offset:         8
        .size:           8
        .value_kind:     global_buffer
      - .offset:         16
        .size:           4
        .value_kind:     by_value
      - .offset:         20
        .size:           4
        .value_kind:     by_value
      - .offset:         24
        .size:           8
        .value_kind:     by_value
      - .offset:         32
        .size:           4
        .value_kind:     hidden_block_count_x
      - .offset:         36
        .size:           4
        .value_kind:     hidden_block_count_y
      - .offset:         40
        .size:           4
        .value_kind:     hidden_block_count_z
      - .offset:         44
        .size:           2
        .value_kind:     hidden_group_size_x
      - .offset:         46
        .size:           2
        .value_kind:     hidden_group_size_y
      - .offset:         48
        .size:           2
        .value_kind:     hidden_group_size_z
      - .offset:         50
        .size:           2
        .value_kind:     hidden_remainder_x
      - .offset:         52
        .size:           2
        .value_kind:     hidden_remainder_y
      - .offset:         54
        .size:           2
        .value_kind:     hidden_remainder_z
      - .offset:         72
        .size:           8
        .value_kind:     hidden_global_offset_x
      - .offset:         80
        .size:           8
        .value_kind:     hidden_global_offset_y
      - .offset:         88
        .size:           8
        .value_kind:     hidden_global_offset_z
      - .offset:         96
        .size:           2
        .value_kind:     hidden_grid_dims
    .group_segment_fixed_size: 0
    .kernarg_segment_align: 8
    .kernarg_segment_size: 288
    .language:       OpenCL C
    .language_version:
      - 2
      - 0
    .max_flat_workgroup_size: 1024
    .name:           _ZN9rocsolver6v33100L10init_identIfPfEEviiT0_iil
    .private_segment_fixed_size: 0
    .sgpr_count:     13
    .sgpr_spill_count: 0
    .symbol:         _ZN9rocsolver6v33100L10init_identIfPfEEviiT0_iil.kd
    .uniform_work_group_size: 1
    .uses_dynamic_stack: false
    .vgpr_count:     4
    .vgpr_spill_count: 0
    .wavefront_size: 64
  - .agpr_count:     0
    .args:
      - .offset:         0
        .size:           4
        .value_kind:     by_value
      - .offset:         4
        .size:           4
        .value_kind:     by_value
      - .offset:         8
        .size:           4
        .value_kind:     by_value
      - .address_space:  global
        .offset:         16
        .size:           8
        .value_kind:     global_buffer
      - .offset:         24
        .size:           8
        .value_kind:     by_value
      - .address_space:  global
        .offset:         32
        .size:           8
        .value_kind:     global_buffer
      - .offset:         40
        .size:           8
        .value_kind:     by_value
      - .offset:         48
        .size:           4
        .value_kind:     by_value
      - .address_space:  global
        .offset:         56
        .size:           8
        .value_kind:     global_buffer
      - .offset:         64
        .size:           4
        .value_kind:     hidden_block_count_x
      - .offset:         68
        .size:           4
        .value_kind:     hidden_block_count_y
      - .offset:         72
        .size:           4
        .value_kind:     hidden_block_count_z
      - .offset:         76
        .size:           2
        .value_kind:     hidden_group_size_x
      - .offset:         78
        .size:           2
        .value_kind:     hidden_group_size_y
      - .offset:         80
        .size:           2
        .value_kind:     hidden_group_size_z
      - .offset:         82
        .size:           2
        .value_kind:     hidden_remainder_x
      - .offset:         84
        .size:           2
        .value_kind:     hidden_remainder_y
      - .offset:         86
        .size:           2
        .value_kind:     hidden_remainder_z
      - .offset:         104
        .size:           8
        .value_kind:     hidden_global_offset_x
      - .offset:         112
        .size:           8
        .value_kind:     hidden_global_offset_y
      - .offset:         120
        .size:           8
        .value_kind:     hidden_global_offset_z
      - .offset:         128
        .size:           2
        .value_kind:     hidden_grid_dims
    .group_segment_fixed_size: 0
    .kernarg_segment_align: 8
    .kernarg_segment_size: 320
    .language:       OpenCL C
    .language_version:
      - 2
      - 0
    .max_flat_workgroup_size: 512
    .name:           _ZN9rocsolver6v33100L19stedc_divide_kernelIfEEviiiPT_lS3_liPi
    .private_segment_fixed_size: 0
    .sgpr_count:     24
    .sgpr_spill_count: 0
    .symbol:         _ZN9rocsolver6v33100L19stedc_divide_kernelIfEEviiiPT_lS3_liPi.kd
    .uniform_work_group_size: 1
    .uses_dynamic_stack: false
    .vgpr_count:     16
    .vgpr_spill_count: 0
    .wavefront_size: 64
  - .agpr_count:     36
    .args:
      - .offset:         0
        .size:           4
        .value_kind:     by_value
      - .offset:         4
        .size:           4
        .value_kind:     by_value
      - .address_space:  global
        .offset:         8
        .size:           8
        .value_kind:     global_buffer
      - .offset:         16
        .size:           8
        .value_kind:     by_value
      - .address_space:  global
        .offset:         24
        .size:           8
        .value_kind:     global_buffer
      - .offset:         32
        .size:           8
        .value_kind:     by_value
      - .address_space:  global
        .offset:         40
        .size:           8
        .value_kind:     global_buffer
      - .offset:         48
        .size:           4
        .value_kind:     by_value
      - .offset:         52
        .size:           4
        .value_kind:     by_value
      - .offset:         56
        .size:           8
        .value_kind:     by_value
      - .address_space:  global
        .offset:         64
        .size:           8
        .value_kind:     global_buffer
      - .address_space:  global
        .offset:         72
        .size:           8
        .value_kind:     global_buffer
      - .address_space:  global
        .offset:         80
        .size:           8
        .value_kind:     global_buffer
      - .offset:         88
        .size:           4
        .value_kind:     by_value
      - .offset:         92
        .size:           4
        .value_kind:     by_value
      - .offset:         96
        .size:           4
        .value_kind:     by_value
      - .offset:         104
        .size:           4
        .value_kind:     hidden_block_count_x
      - .offset:         108
        .size:           4
        .value_kind:     hidden_block_count_y
      - .offset:         112
        .size:           4
        .value_kind:     hidden_block_count_z
      - .offset:         116
        .size:           2
        .value_kind:     hidden_group_size_x
      - .offset:         118
        .size:           2
        .value_kind:     hidden_group_size_y
      - .offset:         120
        .size:           2
        .value_kind:     hidden_group_size_z
      - .offset:         122
        .size:           2
        .value_kind:     hidden_remainder_x
      - .offset:         124
        .size:           2
        .value_kind:     hidden_remainder_y
      - .offset:         126
        .size:           2
        .value_kind:     hidden_remainder_z
      - .offset:         144
        .size:           8
        .value_kind:     hidden_global_offset_x
      - .offset:         152
        .size:           8
        .value_kind:     hidden_global_offset_y
      - .offset:         160
        .size:           8
        .value_kind:     hidden_global_offset_z
      - .offset:         168
        .size:           2
        .value_kind:     hidden_grid_dims
    .group_segment_fixed_size: 36
    .kernarg_segment_align: 8
    .kernarg_segment_size: 360
    .language:       OpenCL C
    .language_version:
      - 2
      - 0
    .max_flat_workgroup_size: 512
    .name:           _ZN9rocsolver6v33100L18stedc_solve_kernelIfEEviiPT_lS3_lS3_iilPiS3_S4_S2_S2_S2_
    .private_segment_fixed_size: 80
    .sgpr_count:     55
    .sgpr_spill_count: 0
    .symbol:         _ZN9rocsolver6v33100L18stedc_solve_kernelIfEEviiPT_lS3_lS3_iilPiS3_S4_S2_S2_S2_.kd
    .uniform_work_group_size: 1
    .uses_dynamic_stack: false
    .vgpr_count:     100
    .vgpr_spill_count: 0
    .wavefront_size: 64
  - .agpr_count:     0
    .args:
      - .offset:         0
        .size:           4
        .value_kind:     by_value
      - .offset:         4
        .size:           4
        .value_kind:     by_value
      - .address_space:  global
        .offset:         8
        .size:           8
        .value_kind:     global_buffer
      - .offset:         16
        .size:           8
        .value_kind:     by_value
      - .address_space:  global
        .offset:         24
        .size:           8
        .value_kind:     global_buffer
      - .offset:         32
        .size:           8
        .value_kind:     by_value
      - .address_space:  global
        .offset:         40
        .size:           8
        .value_kind:     global_buffer
      - .offset:         48
        .size:           4
        .value_kind:     by_value
      - .offset:         52
        .size:           4
        .value_kind:     by_value
      - .offset:         56
        .size:           8
        .value_kind:     by_value
      - .address_space:  global
        .offset:         64
        .size:           8
        .value_kind:     global_buffer
      - .address_space:  global
        .offset:         72
        .size:           8
        .value_kind:     global_buffer
      - .offset:         80
        .size:           4
        .value_kind:     by_value
      - .offset:         88
        .size:           4
        .value_kind:     hidden_block_count_x
      - .offset:         92
        .size:           4
        .value_kind:     hidden_block_count_y
      - .offset:         96
        .size:           4
        .value_kind:     hidden_block_count_z
      - .offset:         100
        .size:           2
        .value_kind:     hidden_group_size_x
      - .offset:         102
        .size:           2
        .value_kind:     hidden_group_size_y
      - .offset:         104
        .size:           2
        .value_kind:     hidden_group_size_z
      - .offset:         106
        .size:           2
        .value_kind:     hidden_remainder_x
      - .offset:         108
        .size:           2
        .value_kind:     hidden_remainder_y
      - .offset:         110
        .size:           2
        .value_kind:     hidden_remainder_z
      - .offset:         128
        .size:           8
        .value_kind:     hidden_global_offset_x
      - .offset:         136
        .size:           8
        .value_kind:     hidden_global_offset_y
      - .offset:         144
        .size:           8
        .value_kind:     hidden_global_offset_z
      - .offset:         152
        .size:           2
        .value_kind:     hidden_grid_dims
    .group_segment_fixed_size: 4096
    .kernarg_segment_align: 8
    .kernarg_segment_size: 344
    .language:       OpenCL C
    .language_version:
      - 2
      - 0
    .max_flat_workgroup_size: 512
    .name:           _ZN9rocsolver6v33100L37stedc_mergePrepare_DeflateZero_kernelIfEEviiPT_lS3_lS3_iilS3_PiS2_
    .private_segment_fixed_size: 0
    .sgpr_count:     46
    .sgpr_spill_count: 0
    .symbol:         _ZN9rocsolver6v33100L37stedc_mergePrepare_DeflateZero_kernelIfEEviiPT_lS3_lS3_iilS3_PiS2_.kd
    .uniform_work_group_size: 1
    .uses_dynamic_stack: false
    .vgpr_count:     20
    .vgpr_spill_count: 0
    .wavefront_size: 64
  - .agpr_count:     0
    .args:
      - .offset:         0
        .size:           4
        .value_kind:     by_value
      - .offset:         4
        .size:           4
        .value_kind:     by_value
      - .address_space:  global
        .offset:         8
        .size:           8
        .value_kind:     global_buffer
      - .offset:         16
        .size:           8
        .value_kind:     by_value
      - .address_space:  global
        .offset:         24
        .size:           8
        .value_kind:     global_buffer
      - .address_space:  global
        .offset:         32
        .size:           8
        .value_kind:     global_buffer
      - .offset:         40
        .size:           4
        .value_kind:     hidden_block_count_x
      - .offset:         44
        .size:           4
        .value_kind:     hidden_block_count_y
      - .offset:         48
        .size:           4
        .value_kind:     hidden_block_count_z
      - .offset:         52
        .size:           2
        .value_kind:     hidden_group_size_x
      - .offset:         54
        .size:           2
        .value_kind:     hidden_group_size_y
      - .offset:         56
        .size:           2
        .value_kind:     hidden_group_size_z
      - .offset:         58
        .size:           2
        .value_kind:     hidden_remainder_x
      - .offset:         60
        .size:           2
        .value_kind:     hidden_remainder_y
      - .offset:         62
        .size:           2
        .value_kind:     hidden_remainder_z
      - .offset:         80
        .size:           8
        .value_kind:     hidden_global_offset_x
      - .offset:         88
        .size:           8
        .value_kind:     hidden_global_offset_y
      - .offset:         96
        .size:           8
        .value_kind:     hidden_global_offset_z
      - .offset:         104
        .size:           2
        .value_kind:     hidden_grid_dims
    .group_segment_fixed_size: 4096
    .kernarg_segment_align: 8
    .kernarg_segment_size: 296
    .language:       OpenCL C
    .language_version:
      - 2
      - 0
    .max_flat_workgroup_size: 512
    .name:           _ZN9rocsolver6v33100L31stedc_mergePrepare_SortD_kernelIfEEviiPT_lS3_Pi
    .private_segment_fixed_size: 0
    .sgpr_count:     56
    .sgpr_spill_count: 0
    .symbol:         _ZN9rocsolver6v33100L31stedc_mergePrepare_SortD_kernelIfEEviiPT_lS3_Pi.kd
    .uniform_work_group_size: 1
    .uses_dynamic_stack: false
    .vgpr_count:     28
    .vgpr_spill_count: 0
    .wavefront_size: 64
  - .agpr_count:     0
    .args:
      - .offset:         0
        .size:           4
        .value_kind:     by_value
      - .offset:         4
        .size:           4
        .value_kind:     by_value
      - .address_space:  global
        .offset:         8
        .size:           8
        .value_kind:     global_buffer
      - .offset:         16
        .size:           8
        .value_kind:     by_value
      - .address_space:  global
        .offset:         24
        .size:           8
        .value_kind:     global_buffer
      - .address_space:  global
        .offset:         32
        .size:           8
        .value_kind:     global_buffer
      - .offset:         40
        .size:           4
        .value_kind:     hidden_block_count_x
      - .offset:         44
        .size:           4
        .value_kind:     hidden_block_count_y
      - .offset:         48
        .size:           4
        .value_kind:     hidden_block_count_z
      - .offset:         52
        .size:           2
        .value_kind:     hidden_group_size_x
      - .offset:         54
        .size:           2
        .value_kind:     hidden_group_size_y
      - .offset:         56
        .size:           2
        .value_kind:     hidden_group_size_z
      - .offset:         58
        .size:           2
        .value_kind:     hidden_remainder_x
      - .offset:         60
        .size:           2
        .value_kind:     hidden_remainder_y
      - .offset:         62
        .size:           2
        .value_kind:     hidden_remainder_z
      - .offset:         80
        .size:           8
        .value_kind:     hidden_global_offset_x
      - .offset:         88
        .size:           8
        .value_kind:     hidden_global_offset_y
      - .offset:         96
        .size:           8
        .value_kind:     hidden_global_offset_z
      - .offset:         104
        .size:           2
        .value_kind:     hidden_grid_dims
    .group_segment_fixed_size: 0
    .kernarg_segment_align: 8
    .kernarg_segment_size: 296
    .language:       OpenCL C
    .language_version:
      - 2
      - 0
    .max_flat_workgroup_size: 512
    .name:           _ZN9rocsolver6v33100L38stedc_mergePrepare_SetCandFlags_kernelIfEEviiPT_lS3_Pi
    .private_segment_fixed_size: 0
    .sgpr_count:     17
    .sgpr_spill_count: 0
    .symbol:         _ZN9rocsolver6v33100L38stedc_mergePrepare_SetCandFlags_kernelIfEEviiPT_lS3_Pi.kd
    .uniform_work_group_size: 1
    .uses_dynamic_stack: false
    .vgpr_count:     16
    .vgpr_spill_count: 0
    .wavefront_size: 64
  - .agpr_count:     0
    .args:
      - .offset:         0
        .size:           4
        .value_kind:     by_value
      - .offset:         4
        .size:           4
        .value_kind:     by_value
      - .address_space:  global
        .offset:         8
        .size:           8
        .value_kind:     global_buffer
      - .offset:         16
        .size:           8
        .value_kind:     by_value
      - .address_space:  global
        .offset:         24
        .size:           8
        .value_kind:     global_buffer
      - .address_space:  global
        .offset:         32
        .size:           8
        .value_kind:     global_buffer
      - .offset:         40
        .size:           4
        .value_kind:     hidden_block_count_x
      - .offset:         44
        .size:           4
        .value_kind:     hidden_block_count_y
      - .offset:         48
        .size:           4
        .value_kind:     hidden_block_count_z
      - .offset:         52
        .size:           2
        .value_kind:     hidden_group_size_x
      - .offset:         54
        .size:           2
        .value_kind:     hidden_group_size_y
      - .offset:         56
        .size:           2
        .value_kind:     hidden_group_size_z
      - .offset:         58
        .size:           2
        .value_kind:     hidden_remainder_x
      - .offset:         60
        .size:           2
        .value_kind:     hidden_remainder_y
      - .offset:         62
        .size:           2
        .value_kind:     hidden_remainder_z
      - .offset:         80
        .size:           8
        .value_kind:     hidden_global_offset_x
      - .offset:         88
        .size:           8
        .value_kind:     hidden_global_offset_y
      - .offset:         96
        .size:           8
        .value_kind:     hidden_global_offset_z
      - .offset:         104
        .size:           2
        .value_kind:     hidden_grid_dims
    .group_segment_fixed_size: 32768
    .kernarg_segment_align: 8
    .kernarg_segment_size: 296
    .language:       OpenCL C
    .language_version:
      - 2
      - 0
    .max_flat_workgroup_size: 512
    .name:           _ZN9rocsolver6v33100L38stedc_mergePrepare_DeflateCount_kernelIfEEviiPT_lS3_Pi
    .private_segment_fixed_size: 0
    .sgpr_count:     33
    .sgpr_spill_count: 0
    .symbol:         _ZN9rocsolver6v33100L38stedc_mergePrepare_DeflateCount_kernelIfEEviiPT_lS3_Pi.kd
    .uniform_work_group_size: 1
    .uses_dynamic_stack: false
    .vgpr_count:     16
    .vgpr_spill_count: 0
    .wavefront_size: 64
  - .agpr_count:     0
    .args:
      - .offset:         0
        .size:           4
        .value_kind:     by_value
      - .offset:         4
        .size:           4
        .value_kind:     by_value
      - .address_space:  global
        .offset:         8
        .size:           8
        .value_kind:     global_buffer
      - .offset:         16
        .size:           8
        .value_kind:     by_value
      - .address_space:  global
        .offset:         24
        .size:           8
        .value_kind:     global_buffer
      - .address_space:  global
        .offset:         32
        .size:           8
        .value_kind:     global_buffer
      - .offset:         40
        .size:           4
        .value_kind:     hidden_block_count_x
      - .offset:         44
        .size:           4
        .value_kind:     hidden_block_count_y
      - .offset:         48
        .size:           4
        .value_kind:     hidden_block_count_z
      - .offset:         52
        .size:           2
        .value_kind:     hidden_group_size_x
      - .offset:         54
        .size:           2
        .value_kind:     hidden_group_size_y
      - .offset:         56
        .size:           2
        .value_kind:     hidden_group_size_z
      - .offset:         58
        .size:           2
        .value_kind:     hidden_remainder_x
      - .offset:         60
        .size:           2
        .value_kind:     hidden_remainder_y
      - .offset:         62
        .size:           2
        .value_kind:     hidden_remainder_z
      - .offset:         80
        .size:           8
        .value_kind:     hidden_global_offset_x
      - .offset:         88
        .size:           8
        .value_kind:     hidden_global_offset_y
      - .offset:         96
        .size:           8
        .value_kind:     hidden_global_offset_z
      - .offset:         104
        .size:           2
        .value_kind:     hidden_grid_dims
    .group_segment_fixed_size: 32768
    .kernarg_segment_align: 8
    .kernarg_segment_size: 296
    .language:       OpenCL C
    .language_version:
      - 2
      - 0
    .max_flat_workgroup_size: 512
    .name:           _ZN9rocsolver6v33100L38stedc_mergePrepare_DeflateApply_kernelIfEEviiPT_lS3_Pi
    .private_segment_fixed_size: 0
    .sgpr_count:     28
    .sgpr_spill_count: 0
    .symbol:         _ZN9rocsolver6v33100L38stedc_mergePrepare_DeflateApply_kernelIfEEviiPT_lS3_Pi.kd
    .uniform_work_group_size: 1
    .uses_dynamic_stack: false
    .vgpr_count:     25
    .vgpr_spill_count: 0
    .wavefront_size: 64
  - .agpr_count:     0
    .args:
      - .offset:         0
        .size:           4
        .value_kind:     by_value
      - .offset:         4
        .size:           4
        .value_kind:     by_value
      - .address_space:  global
        .offset:         8
        .size:           8
        .value_kind:     global_buffer
      - .offset:         16
        .size:           4
        .value_kind:     by_value
      - .offset:         20
        .size:           4
        .value_kind:     by_value
      - .offset:         24
        .size:           8
        .value_kind:     by_value
      - .address_space:  global
        .offset:         32
        .size:           8
        .value_kind:     global_buffer
      - .address_space:  global
        .offset:         40
        .size:           8
        .value_kind:     global_buffer
      - .offset:         48
        .size:           4
        .value_kind:     hidden_block_count_x
      - .offset:         52
        .size:           4
        .value_kind:     hidden_block_count_y
      - .offset:         56
        .size:           4
        .value_kind:     hidden_block_count_z
      - .offset:         60
        .size:           2
        .value_kind:     hidden_group_size_x
      - .offset:         62
        .size:           2
        .value_kind:     hidden_group_size_y
      - .offset:         64
        .size:           2
        .value_kind:     hidden_group_size_z
      - .offset:         66
        .size:           2
        .value_kind:     hidden_remainder_x
      - .offset:         68
        .size:           2
        .value_kind:     hidden_remainder_y
      - .offset:         70
        .size:           2
        .value_kind:     hidden_remainder_z
      - .offset:         88
        .size:           8
        .value_kind:     hidden_global_offset_x
      - .offset:         96
        .size:           8
        .value_kind:     hidden_global_offset_y
      - .offset:         104
        .size:           8
        .value_kind:     hidden_global_offset_z
      - .offset:         112
        .size:           2
        .value_kind:     hidden_grid_dims
    .group_segment_fixed_size: 0
    .kernarg_segment_align: 8
    .kernarg_segment_size: 304
    .language:       OpenCL C
    .language_version:
      - 2
      - 0
    .max_flat_workgroup_size: 512
    .name:           _ZN9rocsolver6v33100L24stedc_mergeRotate_kernelIfEEviiPT_iilS3_Pi
    .private_segment_fixed_size: 0
    .sgpr_count:     63
    .sgpr_spill_count: 0
    .symbol:         _ZN9rocsolver6v33100L24stedc_mergeRotate_kernelIfEEviiPT_iilS3_Pi.kd
    .uniform_work_group_size: 1
    .uses_dynamic_stack: false
    .vgpr_count:     118
    .vgpr_spill_count: 0
    .wavefront_size: 64
  - .agpr_count:     0
    .args:
      - .offset:         0
        .size:           4
        .value_kind:     by_value
      - .offset:         4
        .size:           4
        .value_kind:     by_value
      - .address_space:  global
        .offset:         8
        .size:           8
        .value_kind:     global_buffer
      - .offset:         16
        .size:           8
        .value_kind:     by_value
      - .address_space:  global
        .offset:         24
        .size:           8
        .value_kind:     global_buffer
      - .address_space:  global
        .offset:         32
        .size:           8
        .value_kind:     global_buffer
      - .offset:         40
        .size:           4
        .value_kind:     hidden_block_count_x
      - .offset:         44
        .size:           4
        .value_kind:     hidden_block_count_y
      - .offset:         48
        .size:           4
        .value_kind:     hidden_block_count_z
      - .offset:         52
        .size:           2
        .value_kind:     hidden_group_size_x
      - .offset:         54
        .size:           2
        .value_kind:     hidden_group_size_y
      - .offset:         56
        .size:           2
        .value_kind:     hidden_group_size_z
      - .offset:         58
        .size:           2
        .value_kind:     hidden_remainder_x
      - .offset:         60
        .size:           2
        .value_kind:     hidden_remainder_y
      - .offset:         62
        .size:           2
        .value_kind:     hidden_remainder_z
      - .offset:         80
        .size:           8
        .value_kind:     hidden_global_offset_x
      - .offset:         88
        .size:           8
        .value_kind:     hidden_global_offset_y
      - .offset:         96
        .size:           8
        .value_kind:     hidden_global_offset_z
      - .offset:         104
        .size:           2
        .value_kind:     hidden_grid_dims
    .group_segment_fixed_size: 4096
    .kernarg_segment_align: 8
    .kernarg_segment_size: 296
    .language:       OpenCL C
    .language_version:
      - 2
      - 0
    .max_flat_workgroup_size: 512
    .name:           _ZN9rocsolver6v33100L31stedc_mergeValues_SortDZ_kernelIfEEviiPT_lS3_Pi
    .private_segment_fixed_size: 0
    .sgpr_count:     63
    .sgpr_spill_count: 0
    .symbol:         _ZN9rocsolver6v33100L31stedc_mergeValues_SortDZ_kernelIfEEviiPT_lS3_Pi.kd
    .uniform_work_group_size: 1
    .uses_dynamic_stack: false
    .vgpr_count:     30
    .vgpr_spill_count: 0
    .wavefront_size: 64
  - .agpr_count:     0
    .args:
      - .offset:         0
        .size:           4
        .value_kind:     by_value
      - .offset:         4
        .size:           4
        .value_kind:     by_value
      - .address_space:  global
        .offset:         8
        .size:           8
        .value_kind:     global_buffer
      - .offset:         16
        .size:           8
        .value_kind:     by_value
      - .address_space:  global
        .offset:         24
        .size:           8
        .value_kind:     global_buffer
      - .address_space:  global
        .offset:         32
        .size:           8
        .value_kind:     global_buffer
      - .address_space:  global
        .offset:         40
        .size:           8
        .value_kind:     global_buffer
      - .offset:         48
        .size:           4
        .value_kind:     hidden_block_count_x
      - .offset:         52
        .size:           4
        .value_kind:     hidden_block_count_y
      - .offset:         56
        .size:           4
        .value_kind:     hidden_block_count_z
      - .offset:         60
        .size:           2
        .value_kind:     hidden_group_size_x
      - .offset:         62
        .size:           2
        .value_kind:     hidden_group_size_y
      - .offset:         64
        .size:           2
        .value_kind:     hidden_group_size_z
      - .offset:         66
        .size:           2
        .value_kind:     hidden_remainder_x
      - .offset:         68
        .size:           2
        .value_kind:     hidden_remainder_y
      - .offset:         70
        .size:           2
        .value_kind:     hidden_remainder_z
      - .offset:         88
        .size:           8
        .value_kind:     hidden_global_offset_x
      - .offset:         96
        .size:           8
        .value_kind:     hidden_global_offset_y
      - .offset:         104
        .size:           8
        .value_kind:     hidden_global_offset_z
      - .offset:         112
        .size:           2
        .value_kind:     hidden_grid_dims
    .group_segment_fixed_size: 0
    .kernarg_segment_align: 8
    .kernarg_segment_size: 304
    .language:       OpenCL C
    .language_version:
      - 2
      - 0
    .max_flat_workgroup_size: 512
    .name:           _ZN9rocsolver6v33100L30stedc_mergeValues_copyD_kernelIfEEviiPT_lS3_S3_Pi
    .private_segment_fixed_size: 0
    .sgpr_count:     27
    .sgpr_spill_count: 0
    .symbol:         _ZN9rocsolver6v33100L30stedc_mergeValues_copyD_kernelIfEEviiPT_lS3_S3_Pi.kd
    .uniform_work_group_size: 1
    .uses_dynamic_stack: false
    .vgpr_count:     6
    .vgpr_spill_count: 0
    .wavefront_size: 64
  - .agpr_count:     0
    .args:
      - .offset:         0
        .size:           4
        .value_kind:     by_value
      - .address_space:  global
        .offset:         8
        .size:           8
        .value_kind:     global_buffer
      - .offset:         16
        .size:           4
        .value_kind:     by_value
      - .offset:         20
        .size:           4
        .value_kind:     by_value
      - .offset:         24
        .size:           8
        .value_kind:     by_value
      - .address_space:  global
        .offset:         32
        .size:           8
        .value_kind:     global_buffer
      - .offset:         40
        .size:           4
        .value_kind:     by_value
      - .offset:         44
        .size:           4
        .value_kind:     by_value
      - .offset:         48
        .size:           8
        .value_kind:     by_value
      - .offset:         56
        .size:           4
        .value_kind:     hidden_block_count_x
      - .offset:         60
        .size:           4
        .value_kind:     hidden_block_count_y
      - .offset:         64
        .size:           4
        .value_kind:     hidden_block_count_z
      - .offset:         68
        .size:           2
        .value_kind:     hidden_group_size_x
      - .offset:         70
        .size:           2
        .value_kind:     hidden_group_size_y
      - .offset:         72
        .size:           2
        .value_kind:     hidden_group_size_z
      - .offset:         74
        .size:           2
        .value_kind:     hidden_remainder_x
      - .offset:         76
        .size:           2
        .value_kind:     hidden_remainder_y
      - .offset:         78
        .size:           2
        .value_kind:     hidden_remainder_z
      - .offset:         96
        .size:           8
        .value_kind:     hidden_global_offset_x
      - .offset:         104
        .size:           8
        .value_kind:     hidden_global_offset_y
      - .offset:         112
        .size:           8
        .value_kind:     hidden_global_offset_z
      - .offset:         120
        .size:           2
        .value_kind:     hidden_grid_dims
    .group_segment_fixed_size: 0
    .kernarg_segment_align: 8
    .kernarg_segment_size: 312
    .language:       OpenCL C
    .language_version:
      - 2
      - 0
    .max_flat_workgroup_size: 512
    .name:           _ZN9rocsolver6v33100L11stedc_copyCIfPfS2_EEviT0_iilT1_iil
    .private_segment_fixed_size: 0
    .sgpr_count:     61
    .sgpr_spill_count: 0
    .symbol:         _ZN9rocsolver6v33100L11stedc_copyCIfPfS2_EEviT0_iilT1_iil.kd
    .uniform_work_group_size: 1
    .uses_dynamic_stack: false
    .vgpr_count:     50
    .vgpr_spill_count: 0
    .wavefront_size: 64
  - .agpr_count:     0
    .args:
      - .offset:         0
        .size:           4
        .value_kind:     by_value
      - .address_space:  global
        .offset:         8
        .size:           8
        .value_kind:     global_buffer
      - .offset:         16
        .size:           4
        .value_kind:     by_value
      - .offset:         20
        .size:           4
        .value_kind:     by_value
      - .offset:         24
        .size:           8
        .value_kind:     by_value
      - .address_space:  global
        .offset:         32
        .size:           8
        .value_kind:     global_buffer
      - .offset:         40
        .size:           4
        .value_kind:     by_value
      - .offset:         44
        .size:           4
        .value_kind:     by_value
      - .offset:         48
        .size:           8
        .value_kind:     by_value
      - .address_space:  global
        .offset:         56
        .size:           8
        .value_kind:     global_buffer
      - .offset:         64
        .size:           4
        .value_kind:     hidden_block_count_x
      - .offset:         68
        .size:           4
        .value_kind:     hidden_block_count_y
      - .offset:         72
        .size:           4
        .value_kind:     hidden_block_count_z
      - .offset:         76
        .size:           2
        .value_kind:     hidden_group_size_x
      - .offset:         78
        .size:           2
        .value_kind:     hidden_group_size_y
      - .offset:         80
        .size:           2
        .value_kind:     hidden_group_size_z
      - .offset:         82
        .size:           2
        .value_kind:     hidden_remainder_x
      - .offset:         84
        .size:           2
        .value_kind:     hidden_remainder_y
      - .offset:         86
        .size:           2
        .value_kind:     hidden_remainder_z
      - .offset:         104
        .size:           8
        .value_kind:     hidden_global_offset_x
      - .offset:         112
        .size:           8
        .value_kind:     hidden_global_offset_y
      - .offset:         120
        .size:           8
        .value_kind:     hidden_global_offset_z
      - .offset:         128
        .size:           2
        .value_kind:     hidden_grid_dims
    .group_segment_fixed_size: 0
    .kernarg_segment_align: 8
    .kernarg_segment_size: 320
    .language:       OpenCL C
    .language_version:
      - 2
      - 0
    .max_flat_workgroup_size: 512
    .name:           _ZN9rocsolver6v33100L16stedc_reshuffleCIfPfS2_EEviT0_iilT1_iilPi
    .private_segment_fixed_size: 0
    .sgpr_count:     61
    .sgpr_spill_count: 0
    .symbol:         _ZN9rocsolver6v33100L16stedc_reshuffleCIfPfS2_EEviT0_iilT1_iilPi.kd
    .uniform_work_group_size: 1
    .uses_dynamic_stack: false
    .vgpr_count:     50
    .vgpr_spill_count: 0
    .wavefront_size: 64
  - .agpr_count:     0
    .args:
      - .offset:         0
        .size:           4
        .value_kind:     by_value
      - .offset:         4
        .size:           4
        .value_kind:     by_value
      - .address_space:  global
        .offset:         8
        .size:           8
        .value_kind:     global_buffer
      - .offset:         16
        .size:           8
        .value_kind:     by_value
      - .address_space:  global
        .offset:         24
        .size:           8
        .value_kind:     global_buffer
      - .offset:         32
        .size:           8
        .value_kind:     by_value
      - .address_space:  global
        .offset:         40
        .size:           8
        .value_kind:     global_buffer
      - .address_space:  global
        .offset:         48
        .size:           8
        .value_kind:     global_buffer
      - .address_space:  global
        .offset:         56
        .size:           8
        .value_kind:     global_buffer
      - .offset:         64
        .size:           4
        .value_kind:     by_value
      - .offset:         68
        .size:           4
        .value_kind:     by_value
      - .offset:         72
        .size:           4
        .value_kind:     by_value
      - .offset:         80
        .size:           4
        .value_kind:     hidden_block_count_x
      - .offset:         84
        .size:           4
        .value_kind:     hidden_block_count_y
      - .offset:         88
        .size:           4
        .value_kind:     hidden_block_count_z
      - .offset:         92
        .size:           2
        .value_kind:     hidden_group_size_x
      - .offset:         94
        .size:           2
        .value_kind:     hidden_group_size_y
      - .offset:         96
        .size:           2
        .value_kind:     hidden_group_size_z
      - .offset:         98
        .size:           2
        .value_kind:     hidden_remainder_x
      - .offset:         100
        .size:           2
        .value_kind:     hidden_remainder_y
      - .offset:         102
        .size:           2
        .value_kind:     hidden_remainder_z
      - .offset:         120
        .size:           8
        .value_kind:     hidden_global_offset_x
      - .offset:         128
        .size:           8
        .value_kind:     hidden_global_offset_y
      - .offset:         136
        .size:           8
        .value_kind:     hidden_global_offset_z
      - .offset:         144
        .size:           2
        .value_kind:     hidden_grid_dims
    .group_segment_fixed_size: 0
    .kernarg_segment_align: 8
    .kernarg_segment_size: 336
    .language:       OpenCL C
    .language_version:
      - 2
      - 0
    .max_flat_workgroup_size: 4
    .name:           _ZN9rocsolver6v33100L30stedc_mergeValues_Solve_kernelIfEEviiPT_lS3_lS3_S3_PiS2_S2_S2_
    .private_segment_fixed_size: 0
    .sgpr_count:     49
    .sgpr_spill_count: 0
    .symbol:         _ZN9rocsolver6v33100L30stedc_mergeValues_Solve_kernelIfEEviiPT_lS3_lS3_S3_PiS2_S2_S2_.kd
    .uniform_work_group_size: 1
    .uses_dynamic_stack: false
    .vgpr_count:     49
    .vgpr_spill_count: 0
    .wavefront_size: 64
  - .agpr_count:     0
    .args:
      - .offset:         0
        .size:           4
        .value_kind:     by_value
      - .offset:         4
        .size:           4
        .value_kind:     by_value
      - .address_space:  global
        .offset:         8
        .size:           8
        .value_kind:     global_buffer
      - .offset:         16
        .size:           8
        .value_kind:     by_value
      - .address_space:  global
        .offset:         24
        .size:           8
        .value_kind:     global_buffer
      - .offset:         32
        .size:           8
        .value_kind:     by_value
      - .address_space:  global
        .offset:         40
        .size:           8
        .value_kind:     global_buffer
      - .address_space:  global
        .offset:         48
        .size:           8
        .value_kind:     global_buffer
      - .address_space:  global
        .offset:         56
        .size:           8
        .value_kind:     global_buffer
      - .offset:         64
        .size:           4
        .value_kind:     by_value
      - .offset:         68
        .size:           4
        .value_kind:     by_value
      - .offset:         72
        .size:           4
        .value_kind:     by_value
      - .offset:         80
        .size:           4
        .value_kind:     hidden_block_count_x
      - .offset:         84
        .size:           4
        .value_kind:     hidden_block_count_y
      - .offset:         88
        .size:           4
        .value_kind:     hidden_block_count_z
      - .offset:         92
        .size:           2
        .value_kind:     hidden_group_size_x
      - .offset:         94
        .size:           2
        .value_kind:     hidden_group_size_y
      - .offset:         96
        .size:           2
        .value_kind:     hidden_group_size_z
      - .offset:         98
        .size:           2
        .value_kind:     hidden_remainder_x
      - .offset:         100
        .size:           2
        .value_kind:     hidden_remainder_y
      - .offset:         102
        .size:           2
        .value_kind:     hidden_remainder_z
      - .offset:         120
        .size:           8
        .value_kind:     hidden_global_offset_x
      - .offset:         128
        .size:           8
        .value_kind:     hidden_global_offset_y
      - .offset:         136
        .size:           8
        .value_kind:     hidden_global_offset_z
      - .offset:         144
        .size:           2
        .value_kind:     hidden_grid_dims
    .group_segment_fixed_size: 2048
    .kernarg_segment_align: 8
    .kernarg_segment_size: 336
    .language:       OpenCL C
    .language_version:
      - 2
      - 0
    .max_flat_workgroup_size: 512
    .name:           _ZN9rocsolver6v33100L32stedc_mergeValues_Rescale_kernelIfEEviiPT_lS3_lS3_S3_PiS2_S2_S2_
    .private_segment_fixed_size: 0
    .sgpr_count:     30
    .sgpr_spill_count: 0
    .symbol:         _ZN9rocsolver6v33100L32stedc_mergeValues_Rescale_kernelIfEEviiPT_lS3_lS3_S3_PiS2_S2_S2_.kd
    .uniform_work_group_size: 1
    .uses_dynamic_stack: false
    .vgpr_count:     12
    .vgpr_spill_count: 0
    .wavefront_size: 64
  - .agpr_count:     0
    .args:
      - .offset:         0
        .size:           4
        .value_kind:     by_value
      - .offset:         4
        .size:           4
        .value_kind:     by_value
      - .address_space:  global
        .offset:         8
        .size:           8
        .value_kind:     global_buffer
      - .offset:         16
        .size:           4
        .value_kind:     by_value
      - .offset:         20
        .size:           4
        .value_kind:     by_value
      - .offset:         24
        .size:           8
        .value_kind:     by_value
      - .address_space:  global
        .offset:         32
        .size:           8
        .value_kind:     global_buffer
      - .address_space:  global
        .offset:         40
        .size:           8
        .value_kind:     global_buffer
      - .address_space:  global
        .offset:         48
        .size:           8
        .value_kind:     global_buffer
      - .offset:         56
        .size:           4
        .value_kind:     hidden_block_count_x
      - .offset:         60
        .size:           4
        .value_kind:     hidden_block_count_y
      - .offset:         64
        .size:           4
        .value_kind:     hidden_block_count_z
      - .offset:         68
        .size:           2
        .value_kind:     hidden_group_size_x
      - .offset:         70
        .size:           2
        .value_kind:     hidden_group_size_y
      - .offset:         72
        .size:           2
        .value_kind:     hidden_group_size_z
      - .offset:         74
        .size:           2
        .value_kind:     hidden_remainder_x
      - .offset:         76
        .size:           2
        .value_kind:     hidden_remainder_y
      - .offset:         78
        .size:           2
        .value_kind:     hidden_remainder_z
      - .offset:         96
        .size:           8
        .value_kind:     hidden_global_offset_x
      - .offset:         104
        .size:           8
        .value_kind:     hidden_global_offset_y
      - .offset:         112
        .size:           8
        .value_kind:     hidden_global_offset_z
      - .offset:         120
        .size:           2
        .value_kind:     hidden_grid_dims
    .group_segment_fixed_size: 2048
    .kernarg_segment_align: 8
    .kernarg_segment_size: 312
    .language:       OpenCL C
    .language_version:
      - 2
      - 0
    .max_flat_workgroup_size: 512
    .name:           _ZN9rocsolver6v33100L25stedc_mergeVectors_kernelILb1EfEEviiPT0_iilS3_S3_Pi
    .private_segment_fixed_size: 0
    .sgpr_count:     29
    .sgpr_spill_count: 0
    .symbol:         _ZN9rocsolver6v33100L25stedc_mergeVectors_kernelILb1EfEEviiPT0_iilS3_S3_Pi.kd
    .uniform_work_group_size: 1
    .uses_dynamic_stack: false
    .vgpr_count:     18
    .vgpr_spill_count: 0
    .wavefront_size: 64
  - .agpr_count:     0
    .args:
      - .offset:         0
        .size:           4
        .value_kind:     by_value
      - .offset:         4
        .size:           4
        .value_kind:     by_value
      - .address_space:  global
        .offset:         8
        .size:           8
        .value_kind:     global_buffer
      - .offset:         16
        .size:           8
        .value_kind:     by_value
      - .address_space:  global
        .offset:         24
        .size:           8
        .value_kind:     global_buffer
      - .offset:         32
        .size:           4
        .value_kind:     by_value
      - .offset:         36
        .size:           4
        .value_kind:     by_value
      - .offset:         40
        .size:           8
        .value_kind:     by_value
      - .address_space:  global
        .offset:         48
        .size:           8
        .value_kind:     global_buffer
      - .address_space:  global
        .offset:         56
        .size:           8
        .value_kind:     global_buffer
      - .address_space:  global
        .offset:         64
        .size:           8
        .value_kind:     global_buffer
      - .offset:         72
        .size:           4
        .value_kind:     hidden_block_count_x
      - .offset:         76
        .size:           4
        .value_kind:     hidden_block_count_y
      - .offset:         80
        .size:           4
        .value_kind:     hidden_block_count_z
      - .offset:         84
        .size:           2
        .value_kind:     hidden_group_size_x
      - .offset:         86
        .size:           2
        .value_kind:     hidden_group_size_y
      - .offset:         88
        .size:           2
        .value_kind:     hidden_group_size_z
      - .offset:         90
        .size:           2
        .value_kind:     hidden_remainder_x
      - .offset:         92
        .size:           2
        .value_kind:     hidden_remainder_y
      - .offset:         94
        .size:           2
        .value_kind:     hidden_remainder_z
      - .offset:         112
        .size:           8
        .value_kind:     hidden_global_offset_x
      - .offset:         120
        .size:           8
        .value_kind:     hidden_global_offset_y
      - .offset:         128
        .size:           8
        .value_kind:     hidden_global_offset_z
      - .offset:         136
        .size:           2
        .value_kind:     hidden_grid_dims
    .group_segment_fixed_size: 0
    .kernarg_segment_align: 8
    .kernarg_segment_size: 328
    .language:       OpenCL C
    .language_version:
      - 2
      - 0
    .max_flat_workgroup_size: 512
    .name:           _ZN9rocsolver6v33100L24stedc_mergeUpdate_kernelIfEEviiPT_lS3_iilS3_S3_Pi
    .private_segment_fixed_size: 0
    .sgpr_count:     32
    .sgpr_spill_count: 0
    .symbol:         _ZN9rocsolver6v33100L24stedc_mergeUpdate_kernelIfEEviiPT_lS3_iilS3_S3_Pi.kd
    .uniform_work_group_size: 1
    .uses_dynamic_stack: false
    .vgpr_count:     6
    .vgpr_spill_count: 0
    .wavefront_size: 64
  - .agpr_count:     0
    .args:
      - .offset:         0
        .size:           4
        .value_kind:     by_value
      - .offset:         4
        .size:           4
        .value_kind:     by_value
      - .offset:         8
        .size:           4
        .value_kind:     by_value
      - .address_space:  global
        .offset:         16
        .size:           8
        .value_kind:     global_buffer
      - .offset:         24
        .size:           4
        .value_kind:     by_value
      - .offset:         28
        .size:           4
        .value_kind:     by_value
      - .offset:         32
        .size:           8
        .value_kind:     by_value
      - .address_space:  global
        .offset:         40
        .size:           8
        .value_kind:     global_buffer
      - .offset:         48
        .size:           1
        .value_kind:     by_value
      - .offset:         52
        .size:           4
        .value_kind:     by_value
      - .offset:         56
        .size:           4
        .value_kind:     by_value
      - .offset:         64
        .size:           4
        .value_kind:     hidden_block_count_x
      - .offset:         68
        .size:           4
        .value_kind:     hidden_block_count_y
      - .offset:         72
        .size:           4
        .value_kind:     hidden_block_count_z
      - .offset:         76
        .size:           2
        .value_kind:     hidden_group_size_x
      - .offset:         78
        .size:           2
        .value_kind:     hidden_group_size_y
      - .offset:         80
        .size:           2
        .value_kind:     hidden_group_size_z
      - .offset:         82
        .size:           2
        .value_kind:     hidden_remainder_x
      - .offset:         84
        .size:           2
        .value_kind:     hidden_remainder_y
      - .offset:         86
        .size:           2
        .value_kind:     hidden_remainder_z
      - .offset:         104
        .size:           8
        .value_kind:     hidden_global_offset_x
      - .offset:         112
        .size:           8
        .value_kind:     hidden_global_offset_y
      - .offset:         120
        .size:           8
        .value_kind:     hidden_global_offset_z
      - .offset:         128
        .size:           2
        .value_kind:     hidden_grid_dims
    .group_segment_fixed_size: 0
    .kernarg_segment_align: 8
    .kernarg_segment_size: 320
    .language:       OpenCL C
    .language_version:
      - 2
      - 0
    .max_flat_workgroup_size: 1024
    .name:           _ZN9rocsolver6v33100L8copy_matIfPfNS0_7no_maskEEEvNS0_17copymat_directionEiiT0_iilPT_T1_13rocblas_fill_17rocblas_diagonal_
    .private_segment_fixed_size: 0
    .sgpr_count:     22
    .sgpr_spill_count: 0
    .symbol:         _ZN9rocsolver6v33100L8copy_matIfPfNS0_7no_maskEEEvNS0_17copymat_directionEiiT0_iilPT_T1_13rocblas_fill_17rocblas_diagonal_.kd
    .uniform_work_group_size: 1
    .uses_dynamic_stack: false
    .vgpr_count:     6
    .vgpr_spill_count: 0
    .wavefront_size: 64
  - .agpr_count:     0
    .args:
      - .offset:         0
        .size:           4
        .value_kind:     by_value
      - .address_space:  global
        .offset:         8
        .size:           8
        .value_kind:     global_buffer
      - .offset:         16
        .size:           8
        .value_kind:     by_value
      - .address_space:  global
        .offset:         24
        .size:           8
        .value_kind:     global_buffer
      - .offset:         32
        .size:           8
        .value_kind:     by_value
      - .offset:         40
        .size:           4
        .value_kind:     hidden_block_count_x
      - .offset:         44
        .size:           4
        .value_kind:     hidden_block_count_y
      - .offset:         48
        .size:           4
        .value_kind:     hidden_block_count_z
      - .offset:         52
        .size:           2
        .value_kind:     hidden_group_size_x
      - .offset:         54
        .size:           2
        .value_kind:     hidden_group_size_y
      - .offset:         56
        .size:           2
        .value_kind:     hidden_group_size_z
      - .offset:         58
        .size:           2
        .value_kind:     hidden_remainder_x
      - .offset:         60
        .size:           2
        .value_kind:     hidden_remainder_y
      - .offset:         62
        .size:           2
        .value_kind:     hidden_remainder_z
      - .offset:         80
        .size:           8
        .value_kind:     hidden_global_offset_x
      - .offset:         88
        .size:           8
        .value_kind:     hidden_global_offset_y
      - .offset:         96
        .size:           8
        .value_kind:     hidden_global_offset_z
      - .offset:         104
        .size:           2
        .value_kind:     hidden_grid_dims
    .group_segment_fixed_size: 0
    .kernarg_segment_align: 8
    .kernarg_segment_size: 296
    .language:       OpenCL C
    .language_version:
      - 2
      - 0
    .max_flat_workgroup_size: 512
    .name:           _ZN9rocsolver6v33100L11stedc_copyDIfEEviPT_lS3_l
    .private_segment_fixed_size: 0
    .sgpr_count:     61
    .sgpr_spill_count: 0
    .symbol:         _ZN9rocsolver6v33100L11stedc_copyDIfEEviPT_lS3_l.kd
    .uniform_work_group_size: 1
    .uses_dynamic_stack: false
    .vgpr_count:     50
    .vgpr_spill_count: 0
    .wavefront_size: 64
  - .agpr_count:     0
    .args:
      - .offset:         0
        .size:           4
        .value_kind:     by_value
      - .address_space:  global
        .offset:         8
        .size:           8
        .value_kind:     global_buffer
      - .offset:         16
        .size:           8
        .value_kind:     by_value
      - .address_space:  global
        .offset:         24
        .size:           8
        .value_kind:     global_buffer
      - .offset:         32
        .size:           8
        .value_kind:     by_value
      - .address_space:  global
        .offset:         40
        .size:           8
        .value_kind:     global_buffer
      - .offset:         48
        .size:           4
        .value_kind:     by_value
      - .offset:         52
        .size:           4
        .value_kind:     by_value
      - .offset:         56
        .size:           8
        .value_kind:     by_value
      - .address_space:  global
        .offset:         64
        .size:           8
        .value_kind:     global_buffer
      - .offset:         72
        .size:           4
        .value_kind:     by_value
      - .offset:         76
        .size:           4
        .value_kind:     by_value
      - .offset:         80
        .size:           8
        .value_kind:     by_value
      - .offset:         88
        .size:           4
        .value_kind:     hidden_block_count_x
      - .offset:         92
        .size:           4
        .value_kind:     hidden_block_count_y
      - .offset:         96
        .size:           4
        .value_kind:     hidden_block_count_z
      - .offset:         100
        .size:           2
        .value_kind:     hidden_group_size_x
      - .offset:         102
        .size:           2
        .value_kind:     hidden_group_size_y
      - .offset:         104
        .size:           2
        .value_kind:     hidden_group_size_z
      - .offset:         106
        .size:           2
        .value_kind:     hidden_remainder_x
      - .offset:         108
        .size:           2
        .value_kind:     hidden_remainder_y
      - .offset:         110
        .size:           2
        .value_kind:     hidden_remainder_z
      - .offset:         128
        .size:           8
        .value_kind:     hidden_global_offset_x
      - .offset:         136
        .size:           8
        .value_kind:     hidden_global_offset_y
      - .offset:         144
        .size:           8
        .value_kind:     hidden_global_offset_z
      - .offset:         152
        .size:           2
        .value_kind:     hidden_grid_dims
    .group_segment_fixed_size: 2048
    .kernarg_segment_align: 8
    .kernarg_segment_size: 344
    .language:       OpenCL C
    .language_version:
      - 2
      - 0
    .max_flat_workgroup_size: 512
    .name:           _ZN9rocsolver6v33100L10stedc_sortIffPfS2_EEviPT0_lS4_lT1_iilT2_iil
    .private_segment_fixed_size: 0
    .sgpr_count:     76
    .sgpr_spill_count: 0
    .symbol:         _ZN9rocsolver6v33100L10stedc_sortIffPfS2_EEviPT0_lS4_lT1_iilT2_iil.kd
    .uniform_work_group_size: 1
    .uses_dynamic_stack: false
    .vgpr_count:     54
    .vgpr_spill_count: 0
    .wavefront_size: 64
  - .agpr_count:     0
    .args:
      - .address_space:  global
        .offset:         0
        .size:           8
        .value_kind:     global_buffer
      - .offset:         8
        .size:           8
        .value_kind:     by_value
      - .offset:         16
        .size:           4
        .value_kind:     by_value
      - .offset:         20
        .size:           4
        .value_kind:     by_value
      - .offset:         24
        .size:           4
        .value_kind:     hidden_block_count_x
      - .offset:         28
        .size:           4
        .value_kind:     hidden_block_count_y
      - .offset:         32
        .size:           4
        .value_kind:     hidden_block_count_z
      - .offset:         36
        .size:           2
        .value_kind:     hidden_group_size_x
      - .offset:         38
        .size:           2
        .value_kind:     hidden_group_size_y
      - .offset:         40
        .size:           2
        .value_kind:     hidden_group_size_z
      - .offset:         42
        .size:           2
        .value_kind:     hidden_remainder_x
      - .offset:         44
        .size:           2
        .value_kind:     hidden_remainder_y
      - .offset:         46
        .size:           2
        .value_kind:     hidden_remainder_z
      - .offset:         64
        .size:           8
        .value_kind:     hidden_global_offset_x
      - .offset:         72
        .size:           8
        .value_kind:     hidden_global_offset_y
      - .offset:         80
        .size:           8
        .value_kind:     hidden_global_offset_z
      - .offset:         88
        .size:           2
        .value_kind:     hidden_grid_dims
    .group_segment_fixed_size: 0
    .kernarg_segment_align: 8
    .kernarg_segment_size: 280
    .language:       OpenCL C
    .language_version:
      - 2
      - 0
    .max_flat_workgroup_size: 1024
    .name:           _ZN9rocsolver6v33100L16reset_batch_infoIdiiPdEEvT2_lT0_T1_
    .private_segment_fixed_size: 0
    .sgpr_count:     16
    .sgpr_spill_count: 0
    .symbol:         _ZN9rocsolver6v33100L16reset_batch_infoIdiiPdEEvT2_lT0_T1_.kd
    .uniform_work_group_size: 1
    .uses_dynamic_stack: false
    .vgpr_count:     4
    .vgpr_spill_count: 0
    .wavefront_size: 64
  - .agpr_count:     0
    .args:
      - .offset:         0
        .size:           4
        .value_kind:     by_value
      - .address_space:  global
        .offset:         8
        .size:           8
        .value_kind:     global_buffer
      - .offset:         16
        .size:           8
        .value_kind:     by_value
      - .address_space:  global
        .offset:         24
        .size:           8
        .value_kind:     global_buffer
      - .offset:         32
        .size:           8
        .value_kind:     by_value
      - .address_space:  global
        .offset:         40
        .size:           8
        .value_kind:     global_buffer
      - .address_space:  global
        .offset:         48
        .size:           8
        .value_kind:     global_buffer
      - .offset:         56
        .size:           4
        .value_kind:     by_value
      - .offset:         64
        .size:           8
        .value_kind:     by_value
      - .offset:         72
        .size:           8
        .value_kind:     by_value
      - .offset:         80
        .size:           8
        .value_kind:     by_value
    .group_segment_fixed_size: 0
    .kernarg_segment_align: 8
    .kernarg_segment_size: 88
    .language:       OpenCL C
    .language_version:
      - 2
      - 0
    .max_flat_workgroup_size: 1024
    .name:           _ZN9rocsolver6v33100L12sterf_kernelIdEEviPT_lS3_lPiS4_iS2_S2_S2_
    .private_segment_fixed_size: 0
    .sgpr_count:     82
    .sgpr_spill_count: 0
    .symbol:         _ZN9rocsolver6v33100L12sterf_kernelIdEEviPT_lS3_lPiS4_iS2_S2_S2_.kd
    .uniform_work_group_size: 1
    .uses_dynamic_stack: false
    .vgpr_count:     40
    .vgpr_spill_count: 0
    .wavefront_size: 64
  - .agpr_count:     0
    .args:
      - .offset:         0
        .size:           4
        .value_kind:     by_value
      - .offset:         4
        .size:           4
        .value_kind:     by_value
      - .offset:         8
        .size:           4
        .value_kind:     by_value
      - .offset:         12
        .size:           4
        .value_kind:     by_value
      - .offset:         16
        .size:           4
        .value_kind:     by_value
      - .address_space:  global
        .offset:         24
        .size:           8
        .value_kind:     global_buffer
      - .offset:         32
        .size:           8
        .value_kind:     by_value
      - .address_space:  global
        .offset:         40
        .size:           8
        .value_kind:     global_buffer
      - .offset:         48
        .size:           8
        .value_kind:     by_value
      - .address_space:  global
        .offset:         56
        .size:           8
        .value_kind:     global_buffer
      - .offset:         64
        .size:           8
        .value_kind:     by_value
      - .offset:         72
        .size:           4
        .value_kind:     by_value
      - .offset:         80
        .size:           8
        .value_kind:     by_value
      - .offset:         88
        .size:           4
        .value_kind:     by_value
      - .offset:         96
        .size:           4
        .value_kind:     hidden_block_count_x
      - .offset:         100
        .size:           4
        .value_kind:     hidden_block_count_y
      - .offset:         104
        .size:           4
        .value_kind:     hidden_block_count_z
      - .offset:         108
        .size:           2
        .value_kind:     hidden_group_size_x
      - .offset:         110
        .size:           2
        .value_kind:     hidden_group_size_y
      - .offset:         112
        .size:           2
        .value_kind:     hidden_group_size_z
      - .offset:         114
        .size:           2
        .value_kind:     hidden_remainder_x
      - .offset:         116
        .size:           2
        .value_kind:     hidden_remainder_y
      - .offset:         118
        .size:           2
        .value_kind:     hidden_remainder_z
      - .offset:         136
        .size:           8
        .value_kind:     hidden_global_offset_x
      - .offset:         144
        .size:           8
        .value_kind:     hidden_global_offset_y
      - .offset:         152
        .size:           8
        .value_kind:     hidden_global_offset_z
      - .offset:         160
        .size:           2
        .value_kind:     hidden_grid_dims
    .group_segment_fixed_size: 0
    .kernarg_segment_align: 8
    .kernarg_segment_size: 352
    .language:       OpenCL C
    .language_version:
      - 2
      - 0
    .max_flat_workgroup_size: 64
    .name:           _ZN9rocsolver6v33100L11lasr_kernelIddPdiEEv13rocblas_side_14rocblas_pivot_15rocblas_direct_T2_S6_PT0_lS8_lT1_lS6_lS6_
    .private_segment_fixed_size: 0
    .sgpr_count:     100
    .sgpr_spill_count: 10
    .symbol:         _ZN9rocsolver6v33100L11lasr_kernelIddPdiEEv13rocblas_side_14rocblas_pivot_15rocblas_direct_T2_S6_PT0_lS8_lT1_lS6_lS6_.kd
    .uniform_work_group_size: 1
    .uses_dynamic_stack: false
    .vgpr_count:     50
    .vgpr_spill_count: 0
    .wavefront_size: 64
  - .agpr_count:     0
    .args:
      - .offset:         0
        .size:           4
        .value_kind:     by_value
      - .address_space:  global
        .offset:         8
        .size:           8
        .value_kind:     global_buffer
      - .offset:         16
        .size:           4
        .value_kind:     by_value
      - .address_space:  global
        .offset:         24
        .size:           8
        .value_kind:     global_buffer
      - .offset:         32
        .size:           4
        .value_kind:     by_value
      - .offset:         40
        .size:           4
        .value_kind:     hidden_block_count_x
      - .offset:         44
        .size:           4
        .value_kind:     hidden_block_count_y
      - .offset:         48
        .size:           4
        .value_kind:     hidden_block_count_z
      - .offset:         52
        .size:           2
        .value_kind:     hidden_group_size_x
      - .offset:         54
        .size:           2
        .value_kind:     hidden_group_size_y
      - .offset:         56
        .size:           2
        .value_kind:     hidden_group_size_z
      - .offset:         58
        .size:           2
        .value_kind:     hidden_remainder_x
      - .offset:         60
        .size:           2
        .value_kind:     hidden_remainder_y
      - .offset:         62
        .size:           2
        .value_kind:     hidden_remainder_z
      - .offset:         80
        .size:           8
        .value_kind:     hidden_global_offset_x
      - .offset:         88
        .size:           8
        .value_kind:     hidden_global_offset_y
      - .offset:         96
        .size:           8
        .value_kind:     hidden_global_offset_z
      - .offset:         104
        .size:           2
        .value_kind:     hidden_grid_dims
    .group_segment_fixed_size: 0
    .kernarg_segment_align: 8
    .kernarg_segment_size: 296
    .language:       OpenCL C
    .language_version:
      - 2
      - 0
    .max_flat_workgroup_size: 1024
    .name:           _ZN9rocsolver6v33100L11swap_kernelIdiEEvT0_PT_S2_S4_S2_
    .private_segment_fixed_size: 0
    .sgpr_count:     21
    .sgpr_spill_count: 0
    .symbol:         _ZN9rocsolver6v33100L11swap_kernelIdiEEvT0_PT_S2_S4_S2_.kd
    .uniform_work_group_size: 1
    .uses_dynamic_stack: false
    .vgpr_count:     14
    .vgpr_spill_count: 0
    .wavefront_size: 64
  - .agpr_count:     46
    .args:
      - .offset:         0
        .size:           4
        .value_kind:     by_value
      - .address_space:  global
        .offset:         8
        .size:           8
        .value_kind:     global_buffer
      - .offset:         16
        .size:           8
        .value_kind:     by_value
      - .address_space:  global
        .offset:         24
        .size:           8
        .value_kind:     global_buffer
      - .offset:         32
        .size:           8
        .value_kind:     by_value
      - .address_space:  global
        .offset:         40
        .size:           8
        .value_kind:     global_buffer
      - .offset:         48
        .size:           4
        .value_kind:     by_value
      - .offset:         52
        .size:           4
        .value_kind:     by_value
      - .offset:         56
        .size:           8
        .value_kind:     by_value
      - .address_space:  global
        .offset:         64
        .size:           8
        .value_kind:     global_buffer
      - .address_space:  global
        .offset:         72
        .size:           8
        .value_kind:     global_buffer
      - .offset:         80
        .size:           4
        .value_kind:     by_value
      - .offset:         88
        .size:           8
        .value_kind:     by_value
      - .offset:         96
        .size:           8
        .value_kind:     by_value
      - .offset:         104
        .size:           8
        .value_kind:     by_value
      - .offset:         112
        .size:           4
        .value_kind:     hidden_block_count_x
      - .offset:         116
        .size:           4
        .value_kind:     hidden_block_count_y
      - .offset:         120
        .size:           4
        .value_kind:     hidden_block_count_z
      - .offset:         124
        .size:           2
        .value_kind:     hidden_group_size_x
      - .offset:         126
        .size:           2
        .value_kind:     hidden_group_size_y
      - .offset:         128
        .size:           2
        .value_kind:     hidden_group_size_z
      - .offset:         130
        .size:           2
        .value_kind:     hidden_remainder_x
      - .offset:         132
        .size:           2
        .value_kind:     hidden_remainder_y
      - .offset:         134
        .size:           2
        .value_kind:     hidden_remainder_z
      - .offset:         152
        .size:           8
        .value_kind:     hidden_global_offset_x
      - .offset:         160
        .size:           8
        .value_kind:     hidden_global_offset_y
      - .offset:         168
        .size:           8
        .value_kind:     hidden_global_offset_z
      - .offset:         176
        .size:           2
        .value_kind:     hidden_grid_dims
    .group_segment_fixed_size: 48
    .kernarg_segment_align: 8
    .kernarg_segment_size: 368
    .language:       OpenCL C
    .language_version:
      - 2
      - 0
    .max_flat_workgroup_size: 1024
    .name:           _ZN9rocsolver6v33100L12steqr_kernelIddPdEEviPT0_lS4_lT1_iilPiS4_iS3_S3_S3_
    .private_segment_fixed_size: 128
    .sgpr_count:     57
    .sgpr_spill_count: 0
    .symbol:         _ZN9rocsolver6v33100L12steqr_kernelIddPdEEviPT0_lS4_lT1_iilPiS4_iS3_S3_S3_.kd
    .uniform_work_group_size: 1
    .uses_dynamic_stack: false
    .vgpr_count:     110
    .vgpr_spill_count: 0
    .wavefront_size: 64
  - .agpr_count:     0
    .args:
      - .offset:         0
        .size:           4
        .value_kind:     by_value
      - .offset:         4
        .size:           4
        .value_kind:     by_value
      - .address_space:  global
        .offset:         8
        .size:           8
        .value_kind:     global_buffer
      - .offset:         16
        .size:           4
        .value_kind:     by_value
      - .offset:         20
        .size:           4
        .value_kind:     by_value
      - .offset:         24
        .size:           8
        .value_kind:     by_value
      - .offset:         32
        .size:           4
        .value_kind:     hidden_block_count_x
      - .offset:         36
        .size:           4
        .value_kind:     hidden_block_count_y
      - .offset:         40
        .size:           4
        .value_kind:     hidden_block_count_z
      - .offset:         44
        .size:           2
        .value_kind:     hidden_group_size_x
      - .offset:         46
        .size:           2
        .value_kind:     hidden_group_size_y
      - .offset:         48
        .size:           2
        .value_kind:     hidden_group_size_z
      - .offset:         50
        .size:           2
        .value_kind:     hidden_remainder_x
      - .offset:         52
        .size:           2
        .value_kind:     hidden_remainder_y
      - .offset:         54
        .size:           2
        .value_kind:     hidden_remainder_z
      - .offset:         72
        .size:           8
        .value_kind:     hidden_global_offset_x
      - .offset:         80
        .size:           8
        .value_kind:     hidden_global_offset_y
      - .offset:         88
        .size:           8
        .value_kind:     hidden_global_offset_z
      - .offset:         96
        .size:           2
        .value_kind:     hidden_grid_dims
    .group_segment_fixed_size: 0
    .kernarg_segment_align: 8
    .kernarg_segment_size: 288
    .language:       OpenCL C
    .language_version:
      - 2
      - 0
    .max_flat_workgroup_size: 1024
    .name:           _ZN9rocsolver6v33100L10init_identIdPdEEviiT0_iil
    .private_segment_fixed_size: 0
    .sgpr_count:     13
    .sgpr_spill_count: 0
    .symbol:         _ZN9rocsolver6v33100L10init_identIdPdEEviiT0_iil.kd
    .uniform_work_group_size: 1
    .uses_dynamic_stack: false
    .vgpr_count:     6
    .vgpr_spill_count: 0
    .wavefront_size: 64
  - .agpr_count:     0
    .args:
      - .offset:         0
        .size:           4
        .value_kind:     by_value
      - .offset:         4
        .size:           4
        .value_kind:     by_value
      - .offset:         8
        .size:           4
        .value_kind:     by_value
      - .address_space:  global
        .offset:         16
        .size:           8
        .value_kind:     global_buffer
      - .offset:         24
        .size:           8
        .value_kind:     by_value
      - .address_space:  global
        .offset:         32
        .size:           8
        .value_kind:     global_buffer
      - .offset:         40
        .size:           8
        .value_kind:     by_value
      - .offset:         48
        .size:           4
        .value_kind:     by_value
      - .address_space:  global
        .offset:         56
        .size:           8
        .value_kind:     global_buffer
      - .offset:         64
        .size:           4
        .value_kind:     hidden_block_count_x
      - .offset:         68
        .size:           4
        .value_kind:     hidden_block_count_y
      - .offset:         72
        .size:           4
        .value_kind:     hidden_block_count_z
      - .offset:         76
        .size:           2
        .value_kind:     hidden_group_size_x
      - .offset:         78
        .size:           2
        .value_kind:     hidden_group_size_y
      - .offset:         80
        .size:           2
        .value_kind:     hidden_group_size_z
      - .offset:         82
        .size:           2
        .value_kind:     hidden_remainder_x
      - .offset:         84
        .size:           2
        .value_kind:     hidden_remainder_y
      - .offset:         86
        .size:           2
        .value_kind:     hidden_remainder_z
      - .offset:         104
        .size:           8
        .value_kind:     hidden_global_offset_x
      - .offset:         112
        .size:           8
        .value_kind:     hidden_global_offset_y
      - .offset:         120
        .size:           8
        .value_kind:     hidden_global_offset_z
      - .offset:         128
        .size:           2
        .value_kind:     hidden_grid_dims
    .group_segment_fixed_size: 0
    .kernarg_segment_align: 8
    .kernarg_segment_size: 320
    .language:       OpenCL C
    .language_version:
      - 2
      - 0
    .max_flat_workgroup_size: 512
    .name:           _ZN9rocsolver6v33100L19stedc_divide_kernelIdEEviiiPT_lS3_liPi
    .private_segment_fixed_size: 0
    .sgpr_count:     24
    .sgpr_spill_count: 0
    .symbol:         _ZN9rocsolver6v33100L19stedc_divide_kernelIdEEviiiPT_lS3_liPi.kd
    .uniform_work_group_size: 1
    .uses_dynamic_stack: false
    .vgpr_count:     20
    .vgpr_spill_count: 0
    .wavefront_size: 64
  - .agpr_count:     46
    .args:
      - .offset:         0
        .size:           4
        .value_kind:     by_value
      - .offset:         4
        .size:           4
        .value_kind:     by_value
      - .address_space:  global
        .offset:         8
        .size:           8
        .value_kind:     global_buffer
      - .offset:         16
        .size:           8
        .value_kind:     by_value
      - .address_space:  global
        .offset:         24
        .size:           8
        .value_kind:     global_buffer
      - .offset:         32
        .size:           8
        .value_kind:     by_value
      - .address_space:  global
        .offset:         40
        .size:           8
        .value_kind:     global_buffer
      - .offset:         48
        .size:           4
        .value_kind:     by_value
      - .offset:         52
        .size:           4
        .value_kind:     by_value
      - .offset:         56
        .size:           8
        .value_kind:     by_value
      - .address_space:  global
        .offset:         64
        .size:           8
        .value_kind:     global_buffer
      - .address_space:  global
        .offset:         72
        .size:           8
        .value_kind:     global_buffer
      - .address_space:  global
        .offset:         80
        .size:           8
        .value_kind:     global_buffer
      - .offset:         88
        .size:           8
        .value_kind:     by_value
      - .offset:         96
        .size:           8
        .value_kind:     by_value
      - .offset:         104
        .size:           8
        .value_kind:     by_value
      - .offset:         112
        .size:           4
        .value_kind:     hidden_block_count_x
      - .offset:         116
        .size:           4
        .value_kind:     hidden_block_count_y
      - .offset:         120
        .size:           4
        .value_kind:     hidden_block_count_z
      - .offset:         124
        .size:           2
        .value_kind:     hidden_group_size_x
      - .offset:         126
        .size:           2
        .value_kind:     hidden_group_size_y
      - .offset:         128
        .size:           2
        .value_kind:     hidden_group_size_z
      - .offset:         130
        .size:           2
        .value_kind:     hidden_remainder_x
      - .offset:         132
        .size:           2
        .value_kind:     hidden_remainder_y
      - .offset:         134
        .size:           2
        .value_kind:     hidden_remainder_z
      - .offset:         152
        .size:           8
        .value_kind:     hidden_global_offset_x
      - .offset:         160
        .size:           8
        .value_kind:     hidden_global_offset_y
      - .offset:         168
        .size:           8
        .value_kind:     hidden_global_offset_z
      - .offset:         176
        .size:           2
        .value_kind:     hidden_grid_dims
    .group_segment_fixed_size: 48
    .kernarg_segment_align: 8
    .kernarg_segment_size: 368
    .language:       OpenCL C
    .language_version:
      - 2
      - 0
    .max_flat_workgroup_size: 512
    .name:           _ZN9rocsolver6v33100L18stedc_solve_kernelIdEEviiPT_lS3_lS3_iilPiS3_S4_S2_S2_S2_
    .private_segment_fixed_size: 128
    .sgpr_count:     57
    .sgpr_spill_count: 0
    .symbol:         _ZN9rocsolver6v33100L18stedc_solve_kernelIdEEviiPT_lS3_lS3_iilPiS3_S4_S2_S2_S2_.kd
    .uniform_work_group_size: 1
    .uses_dynamic_stack: false
    .vgpr_count:     110
    .vgpr_spill_count: 0
    .wavefront_size: 64
  - .agpr_count:     0
    .args:
      - .offset:         0
        .size:           4
        .value_kind:     by_value
      - .offset:         4
        .size:           4
        .value_kind:     by_value
      - .address_space:  global
        .offset:         8
        .size:           8
        .value_kind:     global_buffer
      - .offset:         16
        .size:           8
        .value_kind:     by_value
      - .address_space:  global
        .offset:         24
        .size:           8
        .value_kind:     global_buffer
      - .offset:         32
        .size:           8
        .value_kind:     by_value
      - .address_space:  global
        .offset:         40
        .size:           8
        .value_kind:     global_buffer
      - .offset:         48
        .size:           4
        .value_kind:     by_value
      - .offset:         52
        .size:           4
        .value_kind:     by_value
      - .offset:         56
        .size:           8
        .value_kind:     by_value
      - .address_space:  global
        .offset:         64
        .size:           8
        .value_kind:     global_buffer
      - .address_space:  global
        .offset:         72
        .size:           8
        .value_kind:     global_buffer
      - .offset:         80
        .size:           8
        .value_kind:     by_value
      - .offset:         88
        .size:           4
        .value_kind:     hidden_block_count_x
      - .offset:         92
        .size:           4
        .value_kind:     hidden_block_count_y
      - .offset:         96
        .size:           4
        .value_kind:     hidden_block_count_z
      - .offset:         100
        .size:           2
        .value_kind:     hidden_group_size_x
      - .offset:         102
        .size:           2
        .value_kind:     hidden_group_size_y
      - .offset:         104
        .size:           2
        .value_kind:     hidden_group_size_z
      - .offset:         106
        .size:           2
        .value_kind:     hidden_remainder_x
      - .offset:         108
        .size:           2
        .value_kind:     hidden_remainder_y
      - .offset:         110
        .size:           2
        .value_kind:     hidden_remainder_z
      - .offset:         128
        .size:           8
        .value_kind:     hidden_global_offset_x
      - .offset:         136
        .size:           8
        .value_kind:     hidden_global_offset_y
      - .offset:         144
        .size:           8
        .value_kind:     hidden_global_offset_z
      - .offset:         152
        .size:           2
        .value_kind:     hidden_grid_dims
    .group_segment_fixed_size: 8192
    .kernarg_segment_align: 8
    .kernarg_segment_size: 344
    .language:       OpenCL C
    .language_version:
      - 2
      - 0
    .max_flat_workgroup_size: 512
    .name:           _ZN9rocsolver6v33100L37stedc_mergePrepare_DeflateZero_kernelIdEEviiPT_lS3_lS3_iilS3_PiS2_
    .private_segment_fixed_size: 0
    .sgpr_count:     48
    .sgpr_spill_count: 0
    .symbol:         _ZN9rocsolver6v33100L37stedc_mergePrepare_DeflateZero_kernelIdEEviiPT_lS3_lS3_iilS3_PiS2_.kd
    .uniform_work_group_size: 1
    .uses_dynamic_stack: false
    .vgpr_count:     22
    .vgpr_spill_count: 0
    .wavefront_size: 64
  - .agpr_count:     0
    .args:
      - .offset:         0
        .size:           4
        .value_kind:     by_value
      - .offset:         4
        .size:           4
        .value_kind:     by_value
      - .address_space:  global
        .offset:         8
        .size:           8
        .value_kind:     global_buffer
      - .offset:         16
        .size:           8
        .value_kind:     by_value
      - .address_space:  global
        .offset:         24
        .size:           8
        .value_kind:     global_buffer
      - .address_space:  global
        .offset:         32
        .size:           8
        .value_kind:     global_buffer
      - .offset:         40
        .size:           4
        .value_kind:     hidden_block_count_x
      - .offset:         44
        .size:           4
        .value_kind:     hidden_block_count_y
      - .offset:         48
        .size:           4
        .value_kind:     hidden_block_count_z
      - .offset:         52
        .size:           2
        .value_kind:     hidden_group_size_x
      - .offset:         54
        .size:           2
        .value_kind:     hidden_group_size_y
      - .offset:         56
        .size:           2
        .value_kind:     hidden_group_size_z
      - .offset:         58
        .size:           2
        .value_kind:     hidden_remainder_x
      - .offset:         60
        .size:           2
        .value_kind:     hidden_remainder_y
      - .offset:         62
        .size:           2
        .value_kind:     hidden_remainder_z
      - .offset:         80
        .size:           8
        .value_kind:     hidden_global_offset_x
      - .offset:         88
        .size:           8
        .value_kind:     hidden_global_offset_y
      - .offset:         96
        .size:           8
        .value_kind:     hidden_global_offset_z
      - .offset:         104
        .size:           2
        .value_kind:     hidden_grid_dims
    .group_segment_fixed_size: 4096
    .kernarg_segment_align: 8
    .kernarg_segment_size: 296
    .language:       OpenCL C
    .language_version:
      - 2
      - 0
    .max_flat_workgroup_size: 512
    .name:           _ZN9rocsolver6v33100L31stedc_mergePrepare_SortD_kernelIdEEviiPT_lS3_Pi
    .private_segment_fixed_size: 0
    .sgpr_count:     57
    .sgpr_spill_count: 0
    .symbol:         _ZN9rocsolver6v33100L31stedc_mergePrepare_SortD_kernelIdEEviiPT_lS3_Pi.kd
    .uniform_work_group_size: 1
    .uses_dynamic_stack: false
    .vgpr_count:     36
    .vgpr_spill_count: 0
    .wavefront_size: 64
  - .agpr_count:     0
    .args:
      - .offset:         0
        .size:           4
        .value_kind:     by_value
      - .offset:         4
        .size:           4
        .value_kind:     by_value
      - .address_space:  global
        .offset:         8
        .size:           8
        .value_kind:     global_buffer
      - .offset:         16
        .size:           8
        .value_kind:     by_value
      - .address_space:  global
        .offset:         24
        .size:           8
        .value_kind:     global_buffer
      - .address_space:  global
        .offset:         32
        .size:           8
        .value_kind:     global_buffer
      - .offset:         40
        .size:           4
        .value_kind:     hidden_block_count_x
      - .offset:         44
        .size:           4
        .value_kind:     hidden_block_count_y
      - .offset:         48
        .size:           4
        .value_kind:     hidden_block_count_z
      - .offset:         52
        .size:           2
        .value_kind:     hidden_group_size_x
      - .offset:         54
        .size:           2
        .value_kind:     hidden_group_size_y
      - .offset:         56
        .size:           2
        .value_kind:     hidden_group_size_z
      - .offset:         58
        .size:           2
        .value_kind:     hidden_remainder_x
      - .offset:         60
        .size:           2
        .value_kind:     hidden_remainder_y
      - .offset:         62
        .size:           2
        .value_kind:     hidden_remainder_z
      - .offset:         80
        .size:           8
        .value_kind:     hidden_global_offset_x
      - .offset:         88
        .size:           8
        .value_kind:     hidden_global_offset_y
      - .offset:         96
        .size:           8
        .value_kind:     hidden_global_offset_z
      - .offset:         104
        .size:           2
        .value_kind:     hidden_grid_dims
    .group_segment_fixed_size: 0
    .kernarg_segment_align: 8
    .kernarg_segment_size: 296
    .language:       OpenCL C
    .language_version:
      - 2
      - 0
    .max_flat_workgroup_size: 512
    .name:           _ZN9rocsolver6v33100L38stedc_mergePrepare_SetCandFlags_kernelIdEEviiPT_lS3_Pi
    .private_segment_fixed_size: 0
    .sgpr_count:     17
    .sgpr_spill_count: 0
    .symbol:         _ZN9rocsolver6v33100L38stedc_mergePrepare_SetCandFlags_kernelIdEEviiPT_lS3_Pi.kd
    .uniform_work_group_size: 1
    .uses_dynamic_stack: false
    .vgpr_count:     20
    .vgpr_spill_count: 0
    .wavefront_size: 64
  - .agpr_count:     0
    .args:
      - .offset:         0
        .size:           4
        .value_kind:     by_value
      - .offset:         4
        .size:           4
        .value_kind:     by_value
      - .address_space:  global
        .offset:         8
        .size:           8
        .value_kind:     global_buffer
      - .offset:         16
        .size:           8
        .value_kind:     by_value
      - .address_space:  global
        .offset:         24
        .size:           8
        .value_kind:     global_buffer
      - .address_space:  global
        .offset:         32
        .size:           8
        .value_kind:     global_buffer
      - .offset:         40
        .size:           4
        .value_kind:     hidden_block_count_x
      - .offset:         44
        .size:           4
        .value_kind:     hidden_block_count_y
      - .offset:         48
        .size:           4
        .value_kind:     hidden_block_count_z
      - .offset:         52
        .size:           2
        .value_kind:     hidden_group_size_x
      - .offset:         54
        .size:           2
        .value_kind:     hidden_group_size_y
      - .offset:         56
        .size:           2
        .value_kind:     hidden_group_size_z
      - .offset:         58
        .size:           2
        .value_kind:     hidden_remainder_x
      - .offset:         60
        .size:           2
        .value_kind:     hidden_remainder_y
      - .offset:         62
        .size:           2
        .value_kind:     hidden_remainder_z
      - .offset:         80
        .size:           8
        .value_kind:     hidden_global_offset_x
      - .offset:         88
        .size:           8
        .value_kind:     hidden_global_offset_y
      - .offset:         96
        .size:           8
        .value_kind:     hidden_global_offset_z
      - .offset:         104
        .size:           2
        .value_kind:     hidden_grid_dims
    .group_segment_fixed_size: 49152
    .kernarg_segment_align: 8
    .kernarg_segment_size: 296
    .language:       OpenCL C
    .language_version:
      - 2
      - 0
    .max_flat_workgroup_size: 512
    .name:           _ZN9rocsolver6v33100L38stedc_mergePrepare_DeflateCount_kernelIdEEviiPT_lS3_Pi
    .private_segment_fixed_size: 0
    .sgpr_count:     34
    .sgpr_spill_count: 0
    .symbol:         _ZN9rocsolver6v33100L38stedc_mergePrepare_DeflateCount_kernelIdEEviiPT_lS3_Pi.kd
    .uniform_work_group_size: 1
    .uses_dynamic_stack: false
    .vgpr_count:     21
    .vgpr_spill_count: 0
    .wavefront_size: 64
  - .agpr_count:     0
    .args:
      - .offset:         0
        .size:           4
        .value_kind:     by_value
      - .offset:         4
        .size:           4
        .value_kind:     by_value
      - .address_space:  global
        .offset:         8
        .size:           8
        .value_kind:     global_buffer
      - .offset:         16
        .size:           8
        .value_kind:     by_value
      - .address_space:  global
        .offset:         24
        .size:           8
        .value_kind:     global_buffer
      - .address_space:  global
        .offset:         32
        .size:           8
        .value_kind:     global_buffer
      - .offset:         40
        .size:           4
        .value_kind:     hidden_block_count_x
      - .offset:         44
        .size:           4
        .value_kind:     hidden_block_count_y
      - .offset:         48
        .size:           4
        .value_kind:     hidden_block_count_z
      - .offset:         52
        .size:           2
        .value_kind:     hidden_group_size_x
      - .offset:         54
        .size:           2
        .value_kind:     hidden_group_size_y
      - .offset:         56
        .size:           2
        .value_kind:     hidden_group_size_z
      - .offset:         58
        .size:           2
        .value_kind:     hidden_remainder_x
      - .offset:         60
        .size:           2
        .value_kind:     hidden_remainder_y
      - .offset:         62
        .size:           2
        .value_kind:     hidden_remainder_z
      - .offset:         80
        .size:           8
        .value_kind:     hidden_global_offset_x
      - .offset:         88
        .size:           8
        .value_kind:     hidden_global_offset_y
      - .offset:         96
        .size:           8
        .value_kind:     hidden_global_offset_z
      - .offset:         104
        .size:           2
        .value_kind:     hidden_grid_dims
    .group_segment_fixed_size: 49152
    .kernarg_segment_align: 8
    .kernarg_segment_size: 296
    .language:       OpenCL C
    .language_version:
      - 2
      - 0
    .max_flat_workgroup_size: 512
    .name:           _ZN9rocsolver6v33100L38stedc_mergePrepare_DeflateApply_kernelIdEEviiPT_lS3_Pi
    .private_segment_fixed_size: 0
    .sgpr_count:     28
    .sgpr_spill_count: 0
    .symbol:         _ZN9rocsolver6v33100L38stedc_mergePrepare_DeflateApply_kernelIdEEviiPT_lS3_Pi.kd
    .uniform_work_group_size: 1
    .uses_dynamic_stack: false
    .vgpr_count:     38
    .vgpr_spill_count: 0
    .wavefront_size: 64
  - .agpr_count:     0
    .args:
      - .offset:         0
        .size:           4
        .value_kind:     by_value
      - .offset:         4
        .size:           4
        .value_kind:     by_value
      - .address_space:  global
        .offset:         8
        .size:           8
        .value_kind:     global_buffer
      - .offset:         16
        .size:           4
        .value_kind:     by_value
      - .offset:         20
        .size:           4
        .value_kind:     by_value
      - .offset:         24
        .size:           8
        .value_kind:     by_value
      - .address_space:  global
        .offset:         32
        .size:           8
        .value_kind:     global_buffer
      - .address_space:  global
        .offset:         40
        .size:           8
        .value_kind:     global_buffer
      - .offset:         48
        .size:           4
        .value_kind:     hidden_block_count_x
      - .offset:         52
        .size:           4
        .value_kind:     hidden_block_count_y
      - .offset:         56
        .size:           4
        .value_kind:     hidden_block_count_z
      - .offset:         60
        .size:           2
        .value_kind:     hidden_group_size_x
      - .offset:         62
        .size:           2
        .value_kind:     hidden_group_size_y
      - .offset:         64
        .size:           2
        .value_kind:     hidden_group_size_z
      - .offset:         66
        .size:           2
        .value_kind:     hidden_remainder_x
      - .offset:         68
        .size:           2
        .value_kind:     hidden_remainder_y
      - .offset:         70
        .size:           2
        .value_kind:     hidden_remainder_z
      - .offset:         88
        .size:           8
        .value_kind:     hidden_global_offset_x
      - .offset:         96
        .size:           8
        .value_kind:     hidden_global_offset_y
      - .offset:         104
        .size:           8
        .value_kind:     hidden_global_offset_z
      - .offset:         112
        .size:           2
        .value_kind:     hidden_grid_dims
    .group_segment_fixed_size: 0
    .kernarg_segment_align: 8
    .kernarg_segment_size: 304
    .language:       OpenCL C
    .language_version:
      - 2
      - 0
    .max_flat_workgroup_size: 512
    .name:           _ZN9rocsolver6v33100L24stedc_mergeRotate_kernelIdEEviiPT_iilS3_Pi
    .private_segment_fixed_size: 0
    .sgpr_count:     63
    .sgpr_spill_count: 0
    .symbol:         _ZN9rocsolver6v33100L24stedc_mergeRotate_kernelIdEEviiPT_iilS3_Pi.kd
    .uniform_work_group_size: 1
    .uses_dynamic_stack: false
    .vgpr_count:     168
    .vgpr_spill_count: 0
    .wavefront_size: 64
  - .agpr_count:     0
    .args:
      - .offset:         0
        .size:           4
        .value_kind:     by_value
      - .offset:         4
        .size:           4
        .value_kind:     by_value
      - .address_space:  global
        .offset:         8
        .size:           8
        .value_kind:     global_buffer
      - .offset:         16
        .size:           8
        .value_kind:     by_value
      - .address_space:  global
        .offset:         24
        .size:           8
        .value_kind:     global_buffer
      - .address_space:  global
        .offset:         32
        .size:           8
        .value_kind:     global_buffer
      - .offset:         40
        .size:           4
        .value_kind:     hidden_block_count_x
      - .offset:         44
        .size:           4
        .value_kind:     hidden_block_count_y
      - .offset:         48
        .size:           4
        .value_kind:     hidden_block_count_z
      - .offset:         52
        .size:           2
        .value_kind:     hidden_group_size_x
      - .offset:         54
        .size:           2
        .value_kind:     hidden_group_size_y
      - .offset:         56
        .size:           2
        .value_kind:     hidden_group_size_z
      - .offset:         58
        .size:           2
        .value_kind:     hidden_remainder_x
      - .offset:         60
        .size:           2
        .value_kind:     hidden_remainder_y
      - .offset:         62
        .size:           2
        .value_kind:     hidden_remainder_z
      - .offset:         80
        .size:           8
        .value_kind:     hidden_global_offset_x
      - .offset:         88
        .size:           8
        .value_kind:     hidden_global_offset_y
      - .offset:         96
        .size:           8
        .value_kind:     hidden_global_offset_z
      - .offset:         104
        .size:           2
        .value_kind:     hidden_grid_dims
    .group_segment_fixed_size: 4096
    .kernarg_segment_align: 8
    .kernarg_segment_size: 296
    .language:       OpenCL C
    .language_version:
      - 2
      - 0
    .max_flat_workgroup_size: 512
    .name:           _ZN9rocsolver6v33100L31stedc_mergeValues_SortDZ_kernelIdEEviiPT_lS3_Pi
    .private_segment_fixed_size: 0
    .sgpr_count:     67
    .sgpr_spill_count: 0
    .symbol:         _ZN9rocsolver6v33100L31stedc_mergeValues_SortDZ_kernelIdEEviiPT_lS3_Pi.kd
    .uniform_work_group_size: 1
    .uses_dynamic_stack: false
    .vgpr_count:     36
    .vgpr_spill_count: 0
    .wavefront_size: 64
  - .agpr_count:     0
    .args:
      - .offset:         0
        .size:           4
        .value_kind:     by_value
      - .offset:         4
        .size:           4
        .value_kind:     by_value
      - .address_space:  global
        .offset:         8
        .size:           8
        .value_kind:     global_buffer
      - .offset:         16
        .size:           8
        .value_kind:     by_value
      - .address_space:  global
        .offset:         24
        .size:           8
        .value_kind:     global_buffer
      - .address_space:  global
        .offset:         32
        .size:           8
        .value_kind:     global_buffer
      - .address_space:  global
        .offset:         40
        .size:           8
        .value_kind:     global_buffer
      - .offset:         48
        .size:           4
        .value_kind:     hidden_block_count_x
      - .offset:         52
        .size:           4
        .value_kind:     hidden_block_count_y
      - .offset:         56
        .size:           4
        .value_kind:     hidden_block_count_z
      - .offset:         60
        .size:           2
        .value_kind:     hidden_group_size_x
      - .offset:         62
        .size:           2
        .value_kind:     hidden_group_size_y
      - .offset:         64
        .size:           2
        .value_kind:     hidden_group_size_z
      - .offset:         66
        .size:           2
        .value_kind:     hidden_remainder_x
      - .offset:         68
        .size:           2
        .value_kind:     hidden_remainder_y
      - .offset:         70
        .size:           2
        .value_kind:     hidden_remainder_z
      - .offset:         88
        .size:           8
        .value_kind:     hidden_global_offset_x
      - .offset:         96
        .size:           8
        .value_kind:     hidden_global_offset_y
      - .offset:         104
        .size:           8
        .value_kind:     hidden_global_offset_z
      - .offset:         112
        .size:           2
        .value_kind:     hidden_grid_dims
    .group_segment_fixed_size: 0
    .kernarg_segment_align: 8
    .kernarg_segment_size: 304
    .language:       OpenCL C
    .language_version:
      - 2
      - 0
    .max_flat_workgroup_size: 512
    .name:           _ZN9rocsolver6v33100L30stedc_mergeValues_copyD_kernelIdEEviiPT_lS3_S3_Pi
    .private_segment_fixed_size: 0
    .sgpr_count:     27
    .sgpr_spill_count: 0
    .symbol:         _ZN9rocsolver6v33100L30stedc_mergeValues_copyD_kernelIdEEviiPT_lS3_S3_Pi.kd
    .uniform_work_group_size: 1
    .uses_dynamic_stack: false
    .vgpr_count:     8
    .vgpr_spill_count: 0
    .wavefront_size: 64
  - .agpr_count:     0
    .args:
      - .offset:         0
        .size:           4
        .value_kind:     by_value
      - .address_space:  global
        .offset:         8
        .size:           8
        .value_kind:     global_buffer
      - .offset:         16
        .size:           4
        .value_kind:     by_value
      - .offset:         20
        .size:           4
        .value_kind:     by_value
      - .offset:         24
        .size:           8
        .value_kind:     by_value
      - .address_space:  global
        .offset:         32
        .size:           8
        .value_kind:     global_buffer
      - .offset:         40
        .size:           4
        .value_kind:     by_value
      - .offset:         44
        .size:           4
        .value_kind:     by_value
      - .offset:         48
        .size:           8
        .value_kind:     by_value
      - .offset:         56
        .size:           4
        .value_kind:     hidden_block_count_x
      - .offset:         60
        .size:           4
        .value_kind:     hidden_block_count_y
      - .offset:         64
        .size:           4
        .value_kind:     hidden_block_count_z
      - .offset:         68
        .size:           2
        .value_kind:     hidden_group_size_x
      - .offset:         70
        .size:           2
        .value_kind:     hidden_group_size_y
      - .offset:         72
        .size:           2
        .value_kind:     hidden_group_size_z
      - .offset:         74
        .size:           2
        .value_kind:     hidden_remainder_x
      - .offset:         76
        .size:           2
        .value_kind:     hidden_remainder_y
      - .offset:         78
        .size:           2
        .value_kind:     hidden_remainder_z
      - .offset:         96
        .size:           8
        .value_kind:     hidden_global_offset_x
      - .offset:         104
        .size:           8
        .value_kind:     hidden_global_offset_y
      - .offset:         112
        .size:           8
        .value_kind:     hidden_global_offset_z
      - .offset:         120
        .size:           2
        .value_kind:     hidden_grid_dims
    .group_segment_fixed_size: 0
    .kernarg_segment_align: 8
    .kernarg_segment_size: 312
    .language:       OpenCL C
    .language_version:
      - 2
      - 0
    .max_flat_workgroup_size: 512
    .name:           _ZN9rocsolver6v33100L11stedc_copyCIdPdS2_EEviT0_iilT1_iil
    .private_segment_fixed_size: 0
    .sgpr_count:     61
    .sgpr_spill_count: 0
    .symbol:         _ZN9rocsolver6v33100L11stedc_copyCIdPdS2_EEviT0_iilT1_iil.kd
    .uniform_work_group_size: 1
    .uses_dynamic_stack: false
    .vgpr_count:     66
    .vgpr_spill_count: 0
    .wavefront_size: 64
  - .agpr_count:     0
    .args:
      - .offset:         0
        .size:           4
        .value_kind:     by_value
      - .address_space:  global
        .offset:         8
        .size:           8
        .value_kind:     global_buffer
      - .offset:         16
        .size:           4
        .value_kind:     by_value
      - .offset:         20
        .size:           4
        .value_kind:     by_value
      - .offset:         24
        .size:           8
        .value_kind:     by_value
      - .address_space:  global
        .offset:         32
        .size:           8
        .value_kind:     global_buffer
      - .offset:         40
        .size:           4
        .value_kind:     by_value
      - .offset:         44
        .size:           4
        .value_kind:     by_value
      - .offset:         48
        .size:           8
        .value_kind:     by_value
      - .address_space:  global
        .offset:         56
        .size:           8
        .value_kind:     global_buffer
      - .offset:         64
        .size:           4
        .value_kind:     hidden_block_count_x
      - .offset:         68
        .size:           4
        .value_kind:     hidden_block_count_y
      - .offset:         72
        .size:           4
        .value_kind:     hidden_block_count_z
      - .offset:         76
        .size:           2
        .value_kind:     hidden_group_size_x
      - .offset:         78
        .size:           2
        .value_kind:     hidden_group_size_y
      - .offset:         80
        .size:           2
        .value_kind:     hidden_group_size_z
      - .offset:         82
        .size:           2
        .value_kind:     hidden_remainder_x
      - .offset:         84
        .size:           2
        .value_kind:     hidden_remainder_y
      - .offset:         86
        .size:           2
        .value_kind:     hidden_remainder_z
      - .offset:         104
        .size:           8
        .value_kind:     hidden_global_offset_x
      - .offset:         112
        .size:           8
        .value_kind:     hidden_global_offset_y
      - .offset:         120
        .size:           8
        .value_kind:     hidden_global_offset_z
      - .offset:         128
        .size:           2
        .value_kind:     hidden_grid_dims
    .group_segment_fixed_size: 0
    .kernarg_segment_align: 8
    .kernarg_segment_size: 320
    .language:       OpenCL C
    .language_version:
      - 2
      - 0
    .max_flat_workgroup_size: 512
    .name:           _ZN9rocsolver6v33100L16stedc_reshuffleCIdPdS2_EEviT0_iilT1_iilPi
    .private_segment_fixed_size: 0
    .sgpr_count:     61
    .sgpr_spill_count: 0
    .symbol:         _ZN9rocsolver6v33100L16stedc_reshuffleCIdPdS2_EEviT0_iilT1_iilPi.kd
    .uniform_work_group_size: 1
    .uses_dynamic_stack: false
    .vgpr_count:     66
    .vgpr_spill_count: 0
    .wavefront_size: 64
  - .agpr_count:     0
    .args:
      - .offset:         0
        .size:           4
        .value_kind:     by_value
      - .offset:         4
        .size:           4
        .value_kind:     by_value
      - .address_space:  global
        .offset:         8
        .size:           8
        .value_kind:     global_buffer
      - .offset:         16
        .size:           8
        .value_kind:     by_value
      - .address_space:  global
        .offset:         24
        .size:           8
        .value_kind:     global_buffer
      - .offset:         32
        .size:           8
        .value_kind:     by_value
      - .address_space:  global
        .offset:         40
        .size:           8
        .value_kind:     global_buffer
      - .address_space:  global
        .offset:         48
        .size:           8
        .value_kind:     global_buffer
      - .address_space:  global
        .offset:         56
        .size:           8
        .value_kind:     global_buffer
      - .offset:         64
        .size:           8
        .value_kind:     by_value
      - .offset:         72
        .size:           8
        .value_kind:     by_value
      - .offset:         80
        .size:           8
        .value_kind:     by_value
      - .offset:         88
        .size:           4
        .value_kind:     hidden_block_count_x
      - .offset:         92
        .size:           4
        .value_kind:     hidden_block_count_y
      - .offset:         96
        .size:           4
        .value_kind:     hidden_block_count_z
      - .offset:         100
        .size:           2
        .value_kind:     hidden_group_size_x
      - .offset:         102
        .size:           2
        .value_kind:     hidden_group_size_y
      - .offset:         104
        .size:           2
        .value_kind:     hidden_group_size_z
      - .offset:         106
        .size:           2
        .value_kind:     hidden_remainder_x
      - .offset:         108
        .size:           2
        .value_kind:     hidden_remainder_y
      - .offset:         110
        .size:           2
        .value_kind:     hidden_remainder_z
      - .offset:         128
        .size:           8
        .value_kind:     hidden_global_offset_x
      - .offset:         136
        .size:           8
        .value_kind:     hidden_global_offset_y
      - .offset:         144
        .size:           8
        .value_kind:     hidden_global_offset_z
      - .offset:         152
        .size:           2
        .value_kind:     hidden_grid_dims
    .group_segment_fixed_size: 0
    .kernarg_segment_align: 8
    .kernarg_segment_size: 344
    .language:       OpenCL C
    .language_version:
      - 2
      - 0
    .max_flat_workgroup_size: 4
    .name:           _ZN9rocsolver6v33100L30stedc_mergeValues_Solve_kernelIdEEviiPT_lS3_lS3_S3_PiS2_S2_S2_
    .private_segment_fixed_size: 0
    .sgpr_count:     46
    .sgpr_spill_count: 0
    .symbol:         _ZN9rocsolver6v33100L30stedc_mergeValues_Solve_kernelIdEEviiPT_lS3_lS3_S3_PiS2_S2_S2_.kd
    .uniform_work_group_size: 1
    .uses_dynamic_stack: false
    .vgpr_count:     72
    .vgpr_spill_count: 0
    .wavefront_size: 64
  - .agpr_count:     0
    .args:
      - .offset:         0
        .size:           4
        .value_kind:     by_value
      - .offset:         4
        .size:           4
        .value_kind:     by_value
      - .address_space:  global
        .offset:         8
        .size:           8
        .value_kind:     global_buffer
      - .offset:         16
        .size:           8
        .value_kind:     by_value
      - .address_space:  global
        .offset:         24
        .size:           8
        .value_kind:     global_buffer
      - .offset:         32
        .size:           8
        .value_kind:     by_value
      - .address_space:  global
        .offset:         40
        .size:           8
        .value_kind:     global_buffer
      - .address_space:  global
        .offset:         48
        .size:           8
        .value_kind:     global_buffer
      - .address_space:  global
        .offset:         56
        .size:           8
        .value_kind:     global_buffer
      - .offset:         64
        .size:           8
        .value_kind:     by_value
      - .offset:         72
        .size:           8
        .value_kind:     by_value
      - .offset:         80
        .size:           8
        .value_kind:     by_value
      - .offset:         88
        .size:           4
        .value_kind:     hidden_block_count_x
      - .offset:         92
        .size:           4
        .value_kind:     hidden_block_count_y
      - .offset:         96
        .size:           4
        .value_kind:     hidden_block_count_z
      - .offset:         100
        .size:           2
        .value_kind:     hidden_group_size_x
      - .offset:         102
        .size:           2
        .value_kind:     hidden_group_size_y
      - .offset:         104
        .size:           2
        .value_kind:     hidden_group_size_z
      - .offset:         106
        .size:           2
        .value_kind:     hidden_remainder_x
      - .offset:         108
        .size:           2
        .value_kind:     hidden_remainder_y
      - .offset:         110
        .size:           2
        .value_kind:     hidden_remainder_z
      - .offset:         128
        .size:           8
        .value_kind:     hidden_global_offset_x
      - .offset:         136
        .size:           8
        .value_kind:     hidden_global_offset_y
      - .offset:         144
        .size:           8
        .value_kind:     hidden_global_offset_z
      - .offset:         152
        .size:           2
        .value_kind:     hidden_grid_dims
    .group_segment_fixed_size: 4096
    .kernarg_segment_align: 8
    .kernarg_segment_size: 344
    .language:       OpenCL C
    .language_version:
      - 2
      - 0
    .max_flat_workgroup_size: 512
    .name:           _ZN9rocsolver6v33100L32stedc_mergeValues_Rescale_kernelIdEEviiPT_lS3_lS3_S3_PiS2_S2_S2_
    .private_segment_fixed_size: 0
    .sgpr_count:     30
    .sgpr_spill_count: 0
    .symbol:         _ZN9rocsolver6v33100L32stedc_mergeValues_Rescale_kernelIdEEviiPT_lS3_lS3_S3_PiS2_S2_S2_.kd
    .uniform_work_group_size: 1
    .uses_dynamic_stack: false
    .vgpr_count:     20
    .vgpr_spill_count: 0
    .wavefront_size: 64
  - .agpr_count:     0
    .args:
      - .offset:         0
        .size:           4
        .value_kind:     by_value
      - .offset:         4
        .size:           4
        .value_kind:     by_value
      - .address_space:  global
        .offset:         8
        .size:           8
        .value_kind:     global_buffer
      - .offset:         16
        .size:           4
        .value_kind:     by_value
      - .offset:         20
        .size:           4
        .value_kind:     by_value
      - .offset:         24
        .size:           8
        .value_kind:     by_value
      - .address_space:  global
        .offset:         32
        .size:           8
        .value_kind:     global_buffer
      - .address_space:  global
        .offset:         40
        .size:           8
        .value_kind:     global_buffer
      - .address_space:  global
        .offset:         48
        .size:           8
        .value_kind:     global_buffer
      - .offset:         56
        .size:           4
        .value_kind:     hidden_block_count_x
      - .offset:         60
        .size:           4
        .value_kind:     hidden_block_count_y
      - .offset:         64
        .size:           4
        .value_kind:     hidden_block_count_z
      - .offset:         68
        .size:           2
        .value_kind:     hidden_group_size_x
      - .offset:         70
        .size:           2
        .value_kind:     hidden_group_size_y
      - .offset:         72
        .size:           2
        .value_kind:     hidden_group_size_z
      - .offset:         74
        .size:           2
        .value_kind:     hidden_remainder_x
      - .offset:         76
        .size:           2
        .value_kind:     hidden_remainder_y
      - .offset:         78
        .size:           2
        .value_kind:     hidden_remainder_z
      - .offset:         96
        .size:           8
        .value_kind:     hidden_global_offset_x
      - .offset:         104
        .size:           8
        .value_kind:     hidden_global_offset_y
      - .offset:         112
        .size:           8
        .value_kind:     hidden_global_offset_z
      - .offset:         120
        .size:           2
        .value_kind:     hidden_grid_dims
    .group_segment_fixed_size: 4096
    .kernarg_segment_align: 8
    .kernarg_segment_size: 312
    .language:       OpenCL C
    .language_version:
      - 2
      - 0
    .max_flat_workgroup_size: 512
    .name:           _ZN9rocsolver6v33100L25stedc_mergeVectors_kernelILb1EdEEviiPT0_iilS3_S3_Pi
    .private_segment_fixed_size: 0
    .sgpr_count:     29
    .sgpr_spill_count: 0
    .symbol:         _ZN9rocsolver6v33100L25stedc_mergeVectors_kernelILb1EdEEviiPT0_iilS3_S3_Pi.kd
    .uniform_work_group_size: 1
    .uses_dynamic_stack: false
    .vgpr_count:     24
    .vgpr_spill_count: 0
    .wavefront_size: 64
  - .agpr_count:     0
    .args:
      - .offset:         0
        .size:           4
        .value_kind:     by_value
      - .offset:         4
        .size:           4
        .value_kind:     by_value
      - .address_space:  global
        .offset:         8
        .size:           8
        .value_kind:     global_buffer
      - .offset:         16
        .size:           8
        .value_kind:     by_value
      - .address_space:  global
        .offset:         24
        .size:           8
        .value_kind:     global_buffer
      - .offset:         32
        .size:           4
        .value_kind:     by_value
      - .offset:         36
        .size:           4
        .value_kind:     by_value
      - .offset:         40
        .size:           8
        .value_kind:     by_value
      - .address_space:  global
        .offset:         48
        .size:           8
        .value_kind:     global_buffer
      - .address_space:  global
        .offset:         56
        .size:           8
        .value_kind:     global_buffer
      - .address_space:  global
        .offset:         64
        .size:           8
        .value_kind:     global_buffer
      - .offset:         72
        .size:           4
        .value_kind:     hidden_block_count_x
      - .offset:         76
        .size:           4
        .value_kind:     hidden_block_count_y
      - .offset:         80
        .size:           4
        .value_kind:     hidden_block_count_z
      - .offset:         84
        .size:           2
        .value_kind:     hidden_group_size_x
      - .offset:         86
        .size:           2
        .value_kind:     hidden_group_size_y
      - .offset:         88
        .size:           2
        .value_kind:     hidden_group_size_z
      - .offset:         90
        .size:           2
        .value_kind:     hidden_remainder_x
      - .offset:         92
        .size:           2
        .value_kind:     hidden_remainder_y
      - .offset:         94
        .size:           2
        .value_kind:     hidden_remainder_z
      - .offset:         112
        .size:           8
        .value_kind:     hidden_global_offset_x
      - .offset:         120
        .size:           8
        .value_kind:     hidden_global_offset_y
      - .offset:         128
        .size:           8
        .value_kind:     hidden_global_offset_z
      - .offset:         136
        .size:           2
        .value_kind:     hidden_grid_dims
    .group_segment_fixed_size: 0
    .kernarg_segment_align: 8
    .kernarg_segment_size: 328
    .language:       OpenCL C
    .language_version:
      - 2
      - 0
    .max_flat_workgroup_size: 512
    .name:           _ZN9rocsolver6v33100L24stedc_mergeUpdate_kernelIdEEviiPT_lS3_iilS3_S3_Pi
    .private_segment_fixed_size: 0
    .sgpr_count:     32
    .sgpr_spill_count: 0
    .symbol:         _ZN9rocsolver6v33100L24stedc_mergeUpdate_kernelIdEEviiPT_lS3_iilS3_S3_Pi.kd
    .uniform_work_group_size: 1
    .uses_dynamic_stack: false
    .vgpr_count:     8
    .vgpr_spill_count: 0
    .wavefront_size: 64
  - .agpr_count:     0
    .args:
      - .offset:         0
        .size:           4
        .value_kind:     by_value
      - .offset:         4
        .size:           4
        .value_kind:     by_value
      - .offset:         8
        .size:           4
        .value_kind:     by_value
      - .address_space:  global
        .offset:         16
        .size:           8
        .value_kind:     global_buffer
      - .offset:         24
        .size:           4
        .value_kind:     by_value
      - .offset:         28
        .size:           4
        .value_kind:     by_value
      - .offset:         32
        .size:           8
        .value_kind:     by_value
      - .address_space:  global
        .offset:         40
        .size:           8
        .value_kind:     global_buffer
      - .offset:         48
        .size:           1
        .value_kind:     by_value
      - .offset:         52
        .size:           4
        .value_kind:     by_value
      - .offset:         56
        .size:           4
        .value_kind:     by_value
      - .offset:         64
        .size:           4
        .value_kind:     hidden_block_count_x
      - .offset:         68
        .size:           4
        .value_kind:     hidden_block_count_y
      - .offset:         72
        .size:           4
        .value_kind:     hidden_block_count_z
      - .offset:         76
        .size:           2
        .value_kind:     hidden_group_size_x
      - .offset:         78
        .size:           2
        .value_kind:     hidden_group_size_y
      - .offset:         80
        .size:           2
        .value_kind:     hidden_group_size_z
      - .offset:         82
        .size:           2
        .value_kind:     hidden_remainder_x
      - .offset:         84
        .size:           2
        .value_kind:     hidden_remainder_y
      - .offset:         86
        .size:           2
        .value_kind:     hidden_remainder_z
      - .offset:         104
        .size:           8
        .value_kind:     hidden_global_offset_x
      - .offset:         112
        .size:           8
        .value_kind:     hidden_global_offset_y
      - .offset:         120
        .size:           8
        .value_kind:     hidden_global_offset_z
      - .offset:         128
        .size:           2
        .value_kind:     hidden_grid_dims
    .group_segment_fixed_size: 0
    .kernarg_segment_align: 8
    .kernarg_segment_size: 320
    .language:       OpenCL C
    .language_version:
      - 2
      - 0
    .max_flat_workgroup_size: 1024
    .name:           _ZN9rocsolver6v33100L8copy_matIdPdNS0_7no_maskEEEvNS0_17copymat_directionEiiT0_iilPT_T1_13rocblas_fill_17rocblas_diagonal_
    .private_segment_fixed_size: 0
    .sgpr_count:     22
    .sgpr_spill_count: 0
    .symbol:         _ZN9rocsolver6v33100L8copy_matIdPdNS0_7no_maskEEEvNS0_17copymat_directionEiiT0_iilPT_T1_13rocblas_fill_17rocblas_diagonal_.kd
    .uniform_work_group_size: 1
    .uses_dynamic_stack: false
    .vgpr_count:     6
    .vgpr_spill_count: 0
    .wavefront_size: 64
  - .agpr_count:     0
    .args:
      - .offset:         0
        .size:           4
        .value_kind:     by_value
      - .address_space:  global
        .offset:         8
        .size:           8
        .value_kind:     global_buffer
      - .offset:         16
        .size:           8
        .value_kind:     by_value
      - .address_space:  global
        .offset:         24
        .size:           8
        .value_kind:     global_buffer
      - .offset:         32
        .size:           8
        .value_kind:     by_value
      - .offset:         40
        .size:           4
        .value_kind:     hidden_block_count_x
      - .offset:         44
        .size:           4
        .value_kind:     hidden_block_count_y
      - .offset:         48
        .size:           4
        .value_kind:     hidden_block_count_z
      - .offset:         52
        .size:           2
        .value_kind:     hidden_group_size_x
      - .offset:         54
        .size:           2
        .value_kind:     hidden_group_size_y
      - .offset:         56
        .size:           2
        .value_kind:     hidden_group_size_z
      - .offset:         58
        .size:           2
        .value_kind:     hidden_remainder_x
      - .offset:         60
        .size:           2
        .value_kind:     hidden_remainder_y
      - .offset:         62
        .size:           2
        .value_kind:     hidden_remainder_z
      - .offset:         80
        .size:           8
        .value_kind:     hidden_global_offset_x
      - .offset:         88
        .size:           8
        .value_kind:     hidden_global_offset_y
      - .offset:         96
        .size:           8
        .value_kind:     hidden_global_offset_z
      - .offset:         104
        .size:           2
        .value_kind:     hidden_grid_dims
    .group_segment_fixed_size: 0
    .kernarg_segment_align: 8
    .kernarg_segment_size: 296
    .language:       OpenCL C
    .language_version:
      - 2
      - 0
    .max_flat_workgroup_size: 512
    .name:           _ZN9rocsolver6v33100L11stedc_copyDIdEEviPT_lS3_l
    .private_segment_fixed_size: 0
    .sgpr_count:     61
    .sgpr_spill_count: 0
    .symbol:         _ZN9rocsolver6v33100L11stedc_copyDIdEEviPT_lS3_l.kd
    .uniform_work_group_size: 1
    .uses_dynamic_stack: false
    .vgpr_count:     66
    .vgpr_spill_count: 0
    .wavefront_size: 64
  - .agpr_count:     0
    .args:
      - .offset:         0
        .size:           4
        .value_kind:     by_value
      - .address_space:  global
        .offset:         8
        .size:           8
        .value_kind:     global_buffer
      - .offset:         16
        .size:           8
        .value_kind:     by_value
      - .address_space:  global
        .offset:         24
        .size:           8
        .value_kind:     global_buffer
      - .offset:         32
        .size:           8
        .value_kind:     by_value
      - .address_space:  global
        .offset:         40
        .size:           8
        .value_kind:     global_buffer
      - .offset:         48
        .size:           4
        .value_kind:     by_value
      - .offset:         52
        .size:           4
        .value_kind:     by_value
      - .offset:         56
        .size:           8
        .value_kind:     by_value
      - .address_space:  global
        .offset:         64
        .size:           8
        .value_kind:     global_buffer
      - .offset:         72
        .size:           4
        .value_kind:     by_value
      - .offset:         76
        .size:           4
        .value_kind:     by_value
      - .offset:         80
        .size:           8
        .value_kind:     by_value
      - .offset:         88
        .size:           4
        .value_kind:     hidden_block_count_x
      - .offset:         92
        .size:           4
        .value_kind:     hidden_block_count_y
      - .offset:         96
        .size:           4
        .value_kind:     hidden_block_count_z
      - .offset:         100
        .size:           2
        .value_kind:     hidden_group_size_x
      - .offset:         102
        .size:           2
        .value_kind:     hidden_group_size_y
      - .offset:         104
        .size:           2
        .value_kind:     hidden_group_size_z
      - .offset:         106
        .size:           2
        .value_kind:     hidden_remainder_x
      - .offset:         108
        .size:           2
        .value_kind:     hidden_remainder_y
      - .offset:         110
        .size:           2
        .value_kind:     hidden_remainder_z
      - .offset:         128
        .size:           8
        .value_kind:     hidden_global_offset_x
      - .offset:         136
        .size:           8
        .value_kind:     hidden_global_offset_y
      - .offset:         144
        .size:           8
        .value_kind:     hidden_global_offset_z
      - .offset:         152
        .size:           2
        .value_kind:     hidden_grid_dims
    .group_segment_fixed_size: 2048
    .kernarg_segment_align: 8
    .kernarg_segment_size: 344
    .language:       OpenCL C
    .language_version:
      - 2
      - 0
    .max_flat_workgroup_size: 512
    .name:           _ZN9rocsolver6v33100L10stedc_sortIddPdS2_EEviPT0_lS4_lT1_iilT2_iil
    .private_segment_fixed_size: 0
    .sgpr_count:     77
    .sgpr_spill_count: 0
    .symbol:         _ZN9rocsolver6v33100L10stedc_sortIddPdS2_EEviPT0_lS4_lT1_iilT2_iil.kd
    .uniform_work_group_size: 1
    .uses_dynamic_stack: false
    .vgpr_count:     68
    .vgpr_spill_count: 0
    .wavefront_size: 64
  - .agpr_count:     0
    .args:
      - .address_space:  global
        .offset:         0
        .size:           8
        .value_kind:     global_buffer
      - .offset:         8
        .size:           8
        .value_kind:     by_value
      - .offset:         16
        .size:           4
        .value_kind:     by_value
      - .offset:         20
        .size:           4
        .value_kind:     by_value
      - .offset:         24
        .size:           4
        .value_kind:     hidden_block_count_x
      - .offset:         28
        .size:           4
        .value_kind:     hidden_block_count_y
      - .offset:         32
        .size:           4
        .value_kind:     hidden_block_count_z
      - .offset:         36
        .size:           2
        .value_kind:     hidden_group_size_x
      - .offset:         38
        .size:           2
        .value_kind:     hidden_group_size_y
      - .offset:         40
        .size:           2
        .value_kind:     hidden_group_size_z
      - .offset:         42
        .size:           2
        .value_kind:     hidden_remainder_x
      - .offset:         44
        .size:           2
        .value_kind:     hidden_remainder_y
      - .offset:         46
        .size:           2
        .value_kind:     hidden_remainder_z
      - .offset:         64
        .size:           8
        .value_kind:     hidden_global_offset_x
      - .offset:         72
        .size:           8
        .value_kind:     hidden_global_offset_y
      - .offset:         80
        .size:           8
        .value_kind:     hidden_global_offset_z
      - .offset:         88
        .size:           2
        .value_kind:     hidden_grid_dims
    .group_segment_fixed_size: 0
    .kernarg_segment_align: 8
    .kernarg_segment_size: 280
    .language:       OpenCL C
    .language_version:
      - 2
      - 0
    .max_flat_workgroup_size: 1024
    .name:           _ZN9rocsolver6v33100L16reset_batch_infoI19rocblas_complex_numIfEiiPS3_EEvT2_lT0_T1_
    .private_segment_fixed_size: 0
    .sgpr_count:     16
    .sgpr_spill_count: 0
    .symbol:         _ZN9rocsolver6v33100L16reset_batch_infoI19rocblas_complex_numIfEiiPS3_EEvT2_lT0_T1_.kd
    .uniform_work_group_size: 1
    .uses_dynamic_stack: false
    .vgpr_count:     4
    .vgpr_spill_count: 0
    .wavefront_size: 64
  - .agpr_count:     0
    .args:
      - .offset:         0
        .size:           4
        .value_kind:     by_value
      - .offset:         4
        .size:           4
        .value_kind:     by_value
      - .address_space:  global
        .offset:         8
        .size:           8
        .value_kind:     global_buffer
      - .offset:         16
        .size:           4
        .value_kind:     by_value
      - .offset:         20
        .size:           4
        .value_kind:     by_value
      - .offset:         24
        .size:           8
        .value_kind:     by_value
      - .offset:         32
        .size:           4
        .value_kind:     hidden_block_count_x
      - .offset:         36
        .size:           4
        .value_kind:     hidden_block_count_y
      - .offset:         40
        .size:           4
        .value_kind:     hidden_block_count_z
      - .offset:         44
        .size:           2
        .value_kind:     hidden_group_size_x
      - .offset:         46
        .size:           2
        .value_kind:     hidden_group_size_y
      - .offset:         48
        .size:           2
        .value_kind:     hidden_group_size_z
      - .offset:         50
        .size:           2
        .value_kind:     hidden_remainder_x
      - .offset:         52
        .size:           2
        .value_kind:     hidden_remainder_y
      - .offset:         54
        .size:           2
        .value_kind:     hidden_remainder_z
      - .offset:         72
        .size:           8
        .value_kind:     hidden_global_offset_x
      - .offset:         80
        .size:           8
        .value_kind:     hidden_global_offset_y
      - .offset:         88
        .size:           8
        .value_kind:     hidden_global_offset_z
      - .offset:         96
        .size:           2
        .value_kind:     hidden_grid_dims
    .group_segment_fixed_size: 0
    .kernarg_segment_align: 8
    .kernarg_segment_size: 288
    .language:       OpenCL C
    .language_version:
      - 2
      - 0
    .max_flat_workgroup_size: 1024
    .name:           _ZN9rocsolver6v33100L10init_identI19rocblas_complex_numIfEPS3_EEviiT0_iil
    .private_segment_fixed_size: 0
    .sgpr_count:     13
    .sgpr_spill_count: 0
    .symbol:         _ZN9rocsolver6v33100L10init_identI19rocblas_complex_numIfEPS3_EEviiT0_iil.kd
    .uniform_work_group_size: 1
    .uses_dynamic_stack: false
    .vgpr_count:     6
    .vgpr_spill_count: 0
    .wavefront_size: 64
  - .agpr_count:     0
    .args:
      - .offset:         0
        .size:           4
        .value_kind:     by_value
      - .offset:         4
        .size:           4
        .value_kind:     by_value
      - .offset:         8
        .size:           4
        .value_kind:     by_value
      - .offset:         12
        .size:           4
        .value_kind:     by_value
      - .offset:         16
        .size:           4
        .value_kind:     by_value
      - .address_space:  global
        .offset:         24
        .size:           8
        .value_kind:     global_buffer
      - .offset:         32
        .size:           8
        .value_kind:     by_value
      - .address_space:  global
        .offset:         40
        .size:           8
        .value_kind:     global_buffer
      - .offset:         48
        .size:           8
        .value_kind:     by_value
      - .address_space:  global
        .offset:         56
        .size:           8
        .value_kind:     global_buffer
      - .offset:         64
        .size:           8
        .value_kind:     by_value
      - .offset:         72
        .size:           4
        .value_kind:     by_value
      - .offset:         80
        .size:           8
        .value_kind:     by_value
      - .offset:         88
        .size:           4
        .value_kind:     by_value
      - .offset:         96
        .size:           4
        .value_kind:     hidden_block_count_x
      - .offset:         100
        .size:           4
        .value_kind:     hidden_block_count_y
      - .offset:         104
        .size:           4
        .value_kind:     hidden_block_count_z
      - .offset:         108
        .size:           2
        .value_kind:     hidden_group_size_x
      - .offset:         110
        .size:           2
        .value_kind:     hidden_group_size_y
      - .offset:         112
        .size:           2
        .value_kind:     hidden_group_size_z
      - .offset:         114
        .size:           2
        .value_kind:     hidden_remainder_x
      - .offset:         116
        .size:           2
        .value_kind:     hidden_remainder_y
      - .offset:         118
        .size:           2
        .value_kind:     hidden_remainder_z
      - .offset:         136
        .size:           8
        .value_kind:     hidden_global_offset_x
      - .offset:         144
        .size:           8
        .value_kind:     hidden_global_offset_y
      - .offset:         152
        .size:           8
        .value_kind:     hidden_global_offset_z
      - .offset:         160
        .size:           2
        .value_kind:     hidden_grid_dims
    .group_segment_fixed_size: 0
    .kernarg_segment_align: 8
    .kernarg_segment_size: 352
    .language:       OpenCL C
    .language_version:
      - 2
      - 0
    .max_flat_workgroup_size: 64
    .name:           _ZN9rocsolver6v33100L11lasr_kernelI19rocblas_complex_numIfEfPS3_iEEv13rocblas_side_14rocblas_pivot_15rocblas_direct_T2_S8_PT0_lSA_lT1_lS8_lS8_
    .private_segment_fixed_size: 0
    .sgpr_count:     100
    .sgpr_spill_count: 10
    .symbol:         _ZN9rocsolver6v33100L11lasr_kernelI19rocblas_complex_numIfEfPS3_iEEv13rocblas_side_14rocblas_pivot_15rocblas_direct_T2_S8_PT0_lSA_lT1_lS8_lS8_.kd
    .uniform_work_group_size: 1
    .uses_dynamic_stack: false
    .vgpr_count:     49
    .vgpr_spill_count: 0
    .wavefront_size: 64
  - .agpr_count:     0
    .args:
      - .offset:         0
        .size:           4
        .value_kind:     by_value
      - .address_space:  global
        .offset:         8
        .size:           8
        .value_kind:     global_buffer
      - .offset:         16
        .size:           4
        .value_kind:     by_value
      - .address_space:  global
        .offset:         24
        .size:           8
        .value_kind:     global_buffer
      - .offset:         32
        .size:           4
        .value_kind:     by_value
      - .offset:         40
        .size:           4
        .value_kind:     hidden_block_count_x
      - .offset:         44
        .size:           4
        .value_kind:     hidden_block_count_y
      - .offset:         48
        .size:           4
        .value_kind:     hidden_block_count_z
      - .offset:         52
        .size:           2
        .value_kind:     hidden_group_size_x
      - .offset:         54
        .size:           2
        .value_kind:     hidden_group_size_y
      - .offset:         56
        .size:           2
        .value_kind:     hidden_group_size_z
      - .offset:         58
        .size:           2
        .value_kind:     hidden_remainder_x
      - .offset:         60
        .size:           2
        .value_kind:     hidden_remainder_y
      - .offset:         62
        .size:           2
        .value_kind:     hidden_remainder_z
      - .offset:         80
        .size:           8
        .value_kind:     hidden_global_offset_x
      - .offset:         88
        .size:           8
        .value_kind:     hidden_global_offset_y
      - .offset:         96
        .size:           8
        .value_kind:     hidden_global_offset_z
      - .offset:         104
        .size:           2
        .value_kind:     hidden_grid_dims
    .group_segment_fixed_size: 0
    .kernarg_segment_align: 8
    .kernarg_segment_size: 296
    .language:       OpenCL C
    .language_version:
      - 2
      - 0
    .max_flat_workgroup_size: 1024
    .name:           _ZN9rocsolver6v33100L11swap_kernelI19rocblas_complex_numIfEiEEvT0_PT_S4_S6_S4_
    .private_segment_fixed_size: 0
    .sgpr_count:     21
    .sgpr_spill_count: 0
    .symbol:         _ZN9rocsolver6v33100L11swap_kernelI19rocblas_complex_numIfEiEEvT0_PT_S4_S6_S4_.kd
    .uniform_work_group_size: 1
    .uses_dynamic_stack: false
    .vgpr_count:     14
    .vgpr_spill_count: 0
    .wavefront_size: 64
  - .agpr_count:     0
    .args:
      - .offset:         0
        .size:           4
        .value_kind:     by_value
      - .address_space:  global
        .offset:         8
        .size:           8
        .value_kind:     global_buffer
      - .offset:         16
        .size:           8
        .value_kind:     by_value
      - .address_space:  global
        .offset:         24
        .size:           8
        .value_kind:     global_buffer
      - .offset:         32
        .size:           8
        .value_kind:     by_value
      - .address_space:  global
        .offset:         40
        .size:           8
        .value_kind:     global_buffer
      - .offset:         48
        .size:           4
        .value_kind:     by_value
      - .offset:         52
        .size:           4
        .value_kind:     by_value
      - .offset:         56
        .size:           8
        .value_kind:     by_value
      - .address_space:  global
        .offset:         64
        .size:           8
        .value_kind:     global_buffer
      - .address_space:  global
        .offset:         72
        .size:           8
        .value_kind:     global_buffer
      - .offset:         80
        .size:           4
        .value_kind:     by_value
      - .offset:         84
        .size:           4
        .value_kind:     by_value
      - .offset:         88
        .size:           4
        .value_kind:     by_value
      - .offset:         92
        .size:           4
        .value_kind:     by_value
      - .offset:         96
        .size:           4
        .value_kind:     hidden_block_count_x
      - .offset:         100
        .size:           4
        .value_kind:     hidden_block_count_y
      - .offset:         104
        .size:           4
        .value_kind:     hidden_block_count_z
      - .offset:         108
        .size:           2
        .value_kind:     hidden_group_size_x
      - .offset:         110
        .size:           2
        .value_kind:     hidden_group_size_y
      - .offset:         112
        .size:           2
        .value_kind:     hidden_group_size_z
      - .offset:         114
        .size:           2
        .value_kind:     hidden_remainder_x
      - .offset:         116
        .size:           2
        .value_kind:     hidden_remainder_y
      - .offset:         118
        .size:           2
        .value_kind:     hidden_remainder_z
      - .offset:         136
        .size:           8
        .value_kind:     hidden_global_offset_x
      - .offset:         144
        .size:           8
        .value_kind:     hidden_global_offset_y
      - .offset:         152
        .size:           8
        .value_kind:     hidden_global_offset_z
      - .offset:         160
        .size:           2
        .value_kind:     hidden_grid_dims
    .group_segment_fixed_size: 36
    .kernarg_segment_align: 8
    .kernarg_segment_size: 352
    .language:       OpenCL C
    .language_version:
      - 2
      - 0
    .max_flat_workgroup_size: 1024
    .name:           _ZN9rocsolver6v33100L12steqr_kernelI19rocblas_complex_numIfEfPS3_EEviPT0_lS6_lT1_iilPiS6_iS5_S5_S5_
    .private_segment_fixed_size: 0
    .sgpr_count:     100
    .sgpr_spill_count: 2
    .symbol:         _ZN9rocsolver6v33100L12steqr_kernelI19rocblas_complex_numIfEfPS3_EEviPT0_lS6_lT1_iilPiS6_iS5_S5_S5_.kd
    .uniform_work_group_size: 1
    .uses_dynamic_stack: false
    .vgpr_count:     63
    .vgpr_spill_count: 0
    .wavefront_size: 64
  - .agpr_count:     0
    .args:
      - .offset:         0
        .size:           4
        .value_kind:     by_value
      - .offset:         4
        .size:           4
        .value_kind:     by_value
      - .offset:         8
        .size:           4
        .value_kind:     by_value
      - .address_space:  global
        .offset:         16
        .size:           8
        .value_kind:     global_buffer
      - .offset:         24
        .size:           4
        .value_kind:     by_value
      - .offset:         28
        .size:           4
        .value_kind:     by_value
      - .offset:         32
        .size:           8
        .value_kind:     by_value
      - .address_space:  global
        .offset:         40
        .size:           8
        .value_kind:     global_buffer
      - .offset:         48
        .size:           4
        .value_kind:     by_value
      - .offset:         52
        .size:           4
        .value_kind:     by_value
      - .offset:         56
        .size:           4
        .value_kind:     hidden_block_count_x
      - .offset:         60
        .size:           4
        .value_kind:     hidden_block_count_y
      - .offset:         64
        .size:           4
        .value_kind:     hidden_block_count_z
      - .offset:         68
        .size:           2
        .value_kind:     hidden_group_size_x
      - .offset:         70
        .size:           2
        .value_kind:     hidden_group_size_y
      - .offset:         72
        .size:           2
        .value_kind:     hidden_group_size_z
      - .offset:         74
        .size:           2
        .value_kind:     hidden_remainder_x
      - .offset:         76
        .size:           2
        .value_kind:     hidden_remainder_y
      - .offset:         78
        .size:           2
        .value_kind:     hidden_remainder_z
      - .offset:         96
        .size:           8
        .value_kind:     hidden_global_offset_x
      - .offset:         104
        .size:           8
        .value_kind:     hidden_global_offset_y
      - .offset:         112
        .size:           8
        .value_kind:     hidden_global_offset_z
      - .offset:         120
        .size:           2
        .value_kind:     hidden_grid_dims
    .group_segment_fixed_size: 0
    .kernarg_segment_align: 8
    .kernarg_segment_size: 312
    .language:       OpenCL C
    .language_version:
      - 2
      - 0
    .max_flat_workgroup_size: 1024
    .name:           _ZN9rocsolver6v33100L8copy_matI19rocblas_complex_numIfEfLb0EPS3_TnNSt9enable_ifIX18rocblas_is_complexIT_EEiE4typeELi0EEEvNS0_17copymat_directionEiiT2_iilPT0_13rocblas_fill_17rocblas_diagonal_
    .private_segment_fixed_size: 0
    .sgpr_count:     28
    .sgpr_spill_count: 0
    .symbol:         _ZN9rocsolver6v33100L8copy_matI19rocblas_complex_numIfEfLb0EPS3_TnNSt9enable_ifIX18rocblas_is_complexIT_EEiE4typeELi0EEEvNS0_17copymat_directionEiiT2_iilPT0_13rocblas_fill_17rocblas_diagonal_.kd
    .uniform_work_group_size: 1
    .uses_dynamic_stack: false
    .vgpr_count:     8
    .vgpr_spill_count: 0
    .wavefront_size: 64
  - .agpr_count:     0
    .args:
      - .offset:         0
        .size:           4
        .value_kind:     by_value
      - .offset:         4
        .size:           4
        .value_kind:     by_value
      - .address_space:  global
        .offset:         8
        .size:           8
        .value_kind:     global_buffer
      - .offset:         16
        .size:           4
        .value_kind:     by_value
      - .offset:         20
        .size:           4
        .value_kind:     by_value
      - .offset:         24
        .size:           8
        .value_kind:     by_value
      - .offset:         32
        .size:           4
        .value_kind:     by_value
      - .offset:         40
        .size:           4
        .value_kind:     hidden_block_count_x
      - .offset:         44
        .size:           4
        .value_kind:     hidden_block_count_y
      - .offset:         48
        .size:           4
        .value_kind:     hidden_block_count_z
      - .offset:         52
        .size:           2
        .value_kind:     hidden_group_size_x
      - .offset:         54
        .size:           2
        .value_kind:     hidden_group_size_y
      - .offset:         56
        .size:           2
        .value_kind:     hidden_group_size_z
      - .offset:         58
        .size:           2
        .value_kind:     hidden_remainder_x
      - .offset:         60
        .size:           2
        .value_kind:     hidden_remainder_y
      - .offset:         62
        .size:           2
        .value_kind:     hidden_remainder_z
      - .offset:         80
        .size:           8
        .value_kind:     hidden_global_offset_x
      - .offset:         88
        .size:           8
        .value_kind:     hidden_global_offset_y
      - .offset:         96
        .size:           8
        .value_kind:     hidden_global_offset_z
      - .offset:         104
        .size:           2
        .value_kind:     hidden_grid_dims
    .group_segment_fixed_size: 0
    .kernarg_segment_align: 8
    .kernarg_segment_size: 296
    .language:       OpenCL C
    .language_version:
      - 2
      - 0
    .max_flat_workgroup_size: 1024
    .name:           _ZN9rocsolver6v33100L8set_zeroI19rocblas_complex_numIfEPS3_EEviiT0_iil13rocblas_fill_
    .private_segment_fixed_size: 0
    .sgpr_count:     13
    .sgpr_spill_count: 0
    .symbol:         _ZN9rocsolver6v33100L8set_zeroI19rocblas_complex_numIfEPS3_EEviiT0_iil13rocblas_fill_.kd
    .uniform_work_group_size: 1
    .uses_dynamic_stack: false
    .vgpr_count:     4
    .vgpr_spill_count: 0
    .wavefront_size: 64
  - .agpr_count:     0
    .args:
      - .offset:         0
        .size:           4
        .value_kind:     by_value
      - .offset:         4
        .size:           4
        .value_kind:     by_value
      - .offset:         8
        .size:           4
        .value_kind:     by_value
      - .address_space:  global
        .offset:         16
        .size:           8
        .value_kind:     global_buffer
      - .offset:         24
        .size:           4
        .value_kind:     by_value
      - .offset:         28
        .size:           4
        .value_kind:     by_value
      - .offset:         32
        .size:           8
        .value_kind:     by_value
      - .address_space:  global
        .offset:         40
        .size:           8
        .value_kind:     global_buffer
      - .offset:         48
        .size:           4
        .value_kind:     by_value
      - .offset:         52
        .size:           4
        .value_kind:     by_value
      - .offset:         56
        .size:           4
        .value_kind:     hidden_block_count_x
      - .offset:         60
        .size:           4
        .value_kind:     hidden_block_count_y
      - .offset:         64
        .size:           4
        .value_kind:     hidden_block_count_z
      - .offset:         68
        .size:           2
        .value_kind:     hidden_group_size_x
      - .offset:         70
        .size:           2
        .value_kind:     hidden_group_size_y
      - .offset:         72
        .size:           2
        .value_kind:     hidden_group_size_z
      - .offset:         74
        .size:           2
        .value_kind:     hidden_remainder_x
      - .offset:         76
        .size:           2
        .value_kind:     hidden_remainder_y
      - .offset:         78
        .size:           2
        .value_kind:     hidden_remainder_z
      - .offset:         96
        .size:           8
        .value_kind:     hidden_global_offset_x
      - .offset:         104
        .size:           8
        .value_kind:     hidden_global_offset_y
      - .offset:         112
        .size:           8
        .value_kind:     hidden_global_offset_z
      - .offset:         120
        .size:           2
        .value_kind:     hidden_grid_dims
    .group_segment_fixed_size: 0
    .kernarg_segment_align: 8
    .kernarg_segment_size: 312
    .language:       OpenCL C
    .language_version:
      - 2
      - 0
    .max_flat_workgroup_size: 1024
    .name:           _ZN9rocsolver6v33100L8copy_matI19rocblas_complex_numIfEfLb1EPS3_TnNSt9enable_ifIX18rocblas_is_complexIT_EEiE4typeELi0EEEvNS0_17copymat_directionEiiT2_iilPT0_13rocblas_fill_17rocblas_diagonal_
    .private_segment_fixed_size: 0
    .sgpr_count:     22
    .sgpr_spill_count: 0
    .symbol:         _ZN9rocsolver6v33100L8copy_matI19rocblas_complex_numIfEfLb1EPS3_TnNSt9enable_ifIX18rocblas_is_complexIT_EEiE4typeELi0EEEvNS0_17copymat_directionEiiT2_iilPT0_13rocblas_fill_17rocblas_diagonal_.kd
    .uniform_work_group_size: 1
    .uses_dynamic_stack: false
    .vgpr_count:     8
    .vgpr_spill_count: 0
    .wavefront_size: 64
  - .agpr_count:     0
    .args:
      - .offset:         0
        .size:           4
        .value_kind:     by_value
      - .address_space:  global
        .offset:         8
        .size:           8
        .value_kind:     global_buffer
      - .offset:         16
        .size:           4
        .value_kind:     by_value
      - .offset:         20
        .size:           4
        .value_kind:     by_value
      - .offset:         24
        .size:           8
        .value_kind:     by_value
      - .address_space:  global
        .offset:         32
        .size:           8
        .value_kind:     global_buffer
      - .offset:         40
        .size:           4
        .value_kind:     by_value
      - .offset:         44
        .size:           4
        .value_kind:     by_value
      - .offset:         48
        .size:           8
        .value_kind:     by_value
      - .offset:         56
        .size:           4
        .value_kind:     hidden_block_count_x
      - .offset:         60
        .size:           4
        .value_kind:     hidden_block_count_y
      - .offset:         64
        .size:           4
        .value_kind:     hidden_block_count_z
      - .offset:         68
        .size:           2
        .value_kind:     hidden_group_size_x
      - .offset:         70
        .size:           2
        .value_kind:     hidden_group_size_y
      - .offset:         72
        .size:           2
        .value_kind:     hidden_group_size_z
      - .offset:         74
        .size:           2
        .value_kind:     hidden_remainder_x
      - .offset:         76
        .size:           2
        .value_kind:     hidden_remainder_y
      - .offset:         78
        .size:           2
        .value_kind:     hidden_remainder_z
      - .offset:         96
        .size:           8
        .value_kind:     hidden_global_offset_x
      - .offset:         104
        .size:           8
        .value_kind:     hidden_global_offset_y
      - .offset:         112
        .size:           8
        .value_kind:     hidden_global_offset_z
      - .offset:         120
        .size:           2
        .value_kind:     hidden_grid_dims
    .group_segment_fixed_size: 0
    .kernarg_segment_align: 8
    .kernarg_segment_size: 312
    .language:       OpenCL C
    .language_version:
      - 2
      - 0
    .max_flat_workgroup_size: 512
    .name:           _ZN9rocsolver6v33100L11stedc_copyCI19rocblas_complex_numIfEPS3_S4_EEviT0_iilT1_iil
    .private_segment_fixed_size: 0
    .sgpr_count:     61
    .sgpr_spill_count: 0
    .symbol:         _ZN9rocsolver6v33100L11stedc_copyCI19rocblas_complex_numIfEPS3_S4_EEviT0_iilT1_iil.kd
    .uniform_work_group_size: 1
    .uses_dynamic_stack: false
    .vgpr_count:     66
    .vgpr_spill_count: 0
    .wavefront_size: 64
  - .agpr_count:     0
    .args:
      - .offset:         0
        .size:           4
        .value_kind:     by_value
      - .address_space:  global
        .offset:         8
        .size:           8
        .value_kind:     global_buffer
      - .offset:         16
        .size:           8
        .value_kind:     by_value
      - .address_space:  global
        .offset:         24
        .size:           8
        .value_kind:     global_buffer
      - .offset:         32
        .size:           8
        .value_kind:     by_value
      - .address_space:  global
        .offset:         40
        .size:           8
        .value_kind:     global_buffer
      - .offset:         48
        .size:           4
        .value_kind:     by_value
      - .offset:         52
        .size:           4
        .value_kind:     by_value
      - .offset:         56
        .size:           8
        .value_kind:     by_value
      - .address_space:  global
        .offset:         64
        .size:           8
        .value_kind:     global_buffer
      - .offset:         72
        .size:           4
        .value_kind:     by_value
      - .offset:         76
        .size:           4
        .value_kind:     by_value
      - .offset:         80
        .size:           8
        .value_kind:     by_value
      - .offset:         88
        .size:           4
        .value_kind:     hidden_block_count_x
      - .offset:         92
        .size:           4
        .value_kind:     hidden_block_count_y
      - .offset:         96
        .size:           4
        .value_kind:     hidden_block_count_z
      - .offset:         100
        .size:           2
        .value_kind:     hidden_group_size_x
      - .offset:         102
        .size:           2
        .value_kind:     hidden_group_size_y
      - .offset:         104
        .size:           2
        .value_kind:     hidden_group_size_z
      - .offset:         106
        .size:           2
        .value_kind:     hidden_remainder_x
      - .offset:         108
        .size:           2
        .value_kind:     hidden_remainder_y
      - .offset:         110
        .size:           2
        .value_kind:     hidden_remainder_z
      - .offset:         128
        .size:           8
        .value_kind:     hidden_global_offset_x
      - .offset:         136
        .size:           8
        .value_kind:     hidden_global_offset_y
      - .offset:         144
        .size:           8
        .value_kind:     hidden_global_offset_z
      - .offset:         152
        .size:           2
        .value_kind:     hidden_grid_dims
    .group_segment_fixed_size: 2048
    .kernarg_segment_align: 8
    .kernarg_segment_size: 344
    .language:       OpenCL C
    .language_version:
      - 2
      - 0
    .max_flat_workgroup_size: 512
    .name:           _ZN9rocsolver6v33100L10stedc_sortI19rocblas_complex_numIfEfPS3_S4_EEviPT0_lS6_lT1_iilT2_iil
    .private_segment_fixed_size: 0
    .sgpr_count:     76
    .sgpr_spill_count: 0
    .symbol:         _ZN9rocsolver6v33100L10stedc_sortI19rocblas_complex_numIfEfPS3_S4_EEviPT0_lS6_lT1_iilT2_iil.kd
    .uniform_work_group_size: 1
    .uses_dynamic_stack: false
    .vgpr_count:     66
    .vgpr_spill_count: 0
    .wavefront_size: 64
  - .agpr_count:     0
    .args:
      - .address_space:  global
        .offset:         0
        .size:           8
        .value_kind:     global_buffer
      - .offset:         8
        .size:           8
        .value_kind:     by_value
      - .offset:         16
        .size:           4
        .value_kind:     by_value
      - .offset:         20
        .size:           4
        .value_kind:     by_value
      - .offset:         24
        .size:           4
        .value_kind:     hidden_block_count_x
      - .offset:         28
        .size:           4
        .value_kind:     hidden_block_count_y
      - .offset:         32
        .size:           4
        .value_kind:     hidden_block_count_z
      - .offset:         36
        .size:           2
        .value_kind:     hidden_group_size_x
      - .offset:         38
        .size:           2
        .value_kind:     hidden_group_size_y
      - .offset:         40
        .size:           2
        .value_kind:     hidden_group_size_z
      - .offset:         42
        .size:           2
        .value_kind:     hidden_remainder_x
      - .offset:         44
        .size:           2
        .value_kind:     hidden_remainder_y
      - .offset:         46
        .size:           2
        .value_kind:     hidden_remainder_z
      - .offset:         64
        .size:           8
        .value_kind:     hidden_global_offset_x
      - .offset:         72
        .size:           8
        .value_kind:     hidden_global_offset_y
      - .offset:         80
        .size:           8
        .value_kind:     hidden_global_offset_z
      - .offset:         88
        .size:           2
        .value_kind:     hidden_grid_dims
    .group_segment_fixed_size: 0
    .kernarg_segment_align: 8
    .kernarg_segment_size: 280
    .language:       OpenCL C
    .language_version:
      - 2
      - 0
    .max_flat_workgroup_size: 1024
    .name:           _ZN9rocsolver6v33100L16reset_batch_infoI19rocblas_complex_numIdEiiPS3_EEvT2_lT0_T1_
    .private_segment_fixed_size: 0
    .sgpr_count:     16
    .sgpr_spill_count: 0
    .symbol:         _ZN9rocsolver6v33100L16reset_batch_infoI19rocblas_complex_numIdEiiPS3_EEvT2_lT0_T1_.kd
    .uniform_work_group_size: 1
    .uses_dynamic_stack: false
    .vgpr_count:     6
    .vgpr_spill_count: 0
    .wavefront_size: 64
  - .agpr_count:     0
    .args:
      - .offset:         0
        .size:           4
        .value_kind:     by_value
      - .offset:         4
        .size:           4
        .value_kind:     by_value
      - .address_space:  global
        .offset:         8
        .size:           8
        .value_kind:     global_buffer
      - .offset:         16
        .size:           4
        .value_kind:     by_value
      - .offset:         20
        .size:           4
        .value_kind:     by_value
      - .offset:         24
        .size:           8
        .value_kind:     by_value
      - .offset:         32
        .size:           4
        .value_kind:     hidden_block_count_x
      - .offset:         36
        .size:           4
        .value_kind:     hidden_block_count_y
      - .offset:         40
        .size:           4
        .value_kind:     hidden_block_count_z
      - .offset:         44
        .size:           2
        .value_kind:     hidden_group_size_x
      - .offset:         46
        .size:           2
        .value_kind:     hidden_group_size_y
      - .offset:         48
        .size:           2
        .value_kind:     hidden_group_size_z
      - .offset:         50
        .size:           2
        .value_kind:     hidden_remainder_x
      - .offset:         52
        .size:           2
        .value_kind:     hidden_remainder_y
      - .offset:         54
        .size:           2
        .value_kind:     hidden_remainder_z
      - .offset:         72
        .size:           8
        .value_kind:     hidden_global_offset_x
      - .offset:         80
        .size:           8
        .value_kind:     hidden_global_offset_y
      - .offset:         88
        .size:           8
        .value_kind:     hidden_global_offset_z
      - .offset:         96
        .size:           2
        .value_kind:     hidden_grid_dims
    .group_segment_fixed_size: 0
    .kernarg_segment_align: 8
    .kernarg_segment_size: 288
    .language:       OpenCL C
    .language_version:
      - 2
      - 0
    .max_flat_workgroup_size: 1024
    .name:           _ZN9rocsolver6v33100L10init_identI19rocblas_complex_numIdEPS3_EEviiT0_iil
    .private_segment_fixed_size: 0
    .sgpr_count:     13
    .sgpr_spill_count: 0
    .symbol:         _ZN9rocsolver6v33100L10init_identI19rocblas_complex_numIdEPS3_EEviiT0_iil.kd
    .uniform_work_group_size: 1
    .uses_dynamic_stack: false
    .vgpr_count:     6
    .vgpr_spill_count: 0
    .wavefront_size: 64
  - .agpr_count:     0
    .args:
      - .offset:         0
        .size:           4
        .value_kind:     by_value
      - .offset:         4
        .size:           4
        .value_kind:     by_value
      - .offset:         8
        .size:           4
        .value_kind:     by_value
      - .offset:         12
        .size:           4
        .value_kind:     by_value
      - .offset:         16
        .size:           4
        .value_kind:     by_value
      - .address_space:  global
        .offset:         24
        .size:           8
        .value_kind:     global_buffer
      - .offset:         32
        .size:           8
        .value_kind:     by_value
      - .address_space:  global
        .offset:         40
        .size:           8
        .value_kind:     global_buffer
      - .offset:         48
        .size:           8
        .value_kind:     by_value
      - .address_space:  global
        .offset:         56
        .size:           8
        .value_kind:     global_buffer
      - .offset:         64
        .size:           8
        .value_kind:     by_value
      - .offset:         72
        .size:           4
        .value_kind:     by_value
      - .offset:         80
        .size:           8
        .value_kind:     by_value
      - .offset:         88
        .size:           4
        .value_kind:     by_value
      - .offset:         96
        .size:           4
        .value_kind:     hidden_block_count_x
      - .offset:         100
        .size:           4
        .value_kind:     hidden_block_count_y
      - .offset:         104
        .size:           4
        .value_kind:     hidden_block_count_z
      - .offset:         108
        .size:           2
        .value_kind:     hidden_group_size_x
      - .offset:         110
        .size:           2
        .value_kind:     hidden_group_size_y
      - .offset:         112
        .size:           2
        .value_kind:     hidden_group_size_z
      - .offset:         114
        .size:           2
        .value_kind:     hidden_remainder_x
      - .offset:         116
        .size:           2
        .value_kind:     hidden_remainder_y
      - .offset:         118
        .size:           2
        .value_kind:     hidden_remainder_z
      - .offset:         136
        .size:           8
        .value_kind:     hidden_global_offset_x
      - .offset:         144
        .size:           8
        .value_kind:     hidden_global_offset_y
      - .offset:         152
        .size:           8
        .value_kind:     hidden_global_offset_z
      - .offset:         160
        .size:           2
        .value_kind:     hidden_grid_dims
    .group_segment_fixed_size: 0
    .kernarg_segment_align: 8
    .kernarg_segment_size: 352
    .language:       OpenCL C
    .language_version:
      - 2
      - 0
    .max_flat_workgroup_size: 64
    .name:           _ZN9rocsolver6v33100L11lasr_kernelI19rocblas_complex_numIdEdPS3_iEEv13rocblas_side_14rocblas_pivot_15rocblas_direct_T2_S8_PT0_lSA_lT1_lS8_lS8_
    .private_segment_fixed_size: 0
    .sgpr_count:     100
    .sgpr_spill_count: 10
    .symbol:         _ZN9rocsolver6v33100L11lasr_kernelI19rocblas_complex_numIdEdPS3_iEEv13rocblas_side_14rocblas_pivot_15rocblas_direct_T2_S8_PT0_lSA_lT1_lS8_lS8_.kd
    .uniform_work_group_size: 1
    .uses_dynamic_stack: false
    .vgpr_count:     60
    .vgpr_spill_count: 0
    .wavefront_size: 64
  - .agpr_count:     0
    .args:
      - .offset:         0
        .size:           4
        .value_kind:     by_value
      - .address_space:  global
        .offset:         8
        .size:           8
        .value_kind:     global_buffer
      - .offset:         16
        .size:           4
        .value_kind:     by_value
      - .address_space:  global
        .offset:         24
        .size:           8
        .value_kind:     global_buffer
      - .offset:         32
        .size:           4
        .value_kind:     by_value
      - .offset:         40
        .size:           4
        .value_kind:     hidden_block_count_x
      - .offset:         44
        .size:           4
        .value_kind:     hidden_block_count_y
      - .offset:         48
        .size:           4
        .value_kind:     hidden_block_count_z
      - .offset:         52
        .size:           2
        .value_kind:     hidden_group_size_x
      - .offset:         54
        .size:           2
        .value_kind:     hidden_group_size_y
      - .offset:         56
        .size:           2
        .value_kind:     hidden_group_size_z
      - .offset:         58
        .size:           2
        .value_kind:     hidden_remainder_x
      - .offset:         60
        .size:           2
        .value_kind:     hidden_remainder_y
      - .offset:         62
        .size:           2
        .value_kind:     hidden_remainder_z
      - .offset:         80
        .size:           8
        .value_kind:     hidden_global_offset_x
      - .offset:         88
        .size:           8
        .value_kind:     hidden_global_offset_y
      - .offset:         96
        .size:           8
        .value_kind:     hidden_global_offset_z
      - .offset:         104
        .size:           2
        .value_kind:     hidden_grid_dims
    .group_segment_fixed_size: 32768
    .kernarg_segment_align: 8
    .kernarg_segment_size: 296
    .language:       OpenCL C
    .language_version:
      - 2
      - 0
    .max_flat_workgroup_size: 1024
    .name:           _ZN9rocsolver6v33100L11swap_kernelI19rocblas_complex_numIdEiEEvT0_PT_S4_S6_S4_
    .private_segment_fixed_size: 0
    .sgpr_count:     21
    .sgpr_spill_count: 0
    .symbol:         _ZN9rocsolver6v33100L11swap_kernelI19rocblas_complex_numIdEiEEvT0_PT_S4_S6_S4_.kd
    .uniform_work_group_size: 1
    .uses_dynamic_stack: false
    .vgpr_count:     20
    .vgpr_spill_count: 0
    .wavefront_size: 64
  - .agpr_count:     0
    .args:
      - .offset:         0
        .size:           4
        .value_kind:     by_value
      - .address_space:  global
        .offset:         8
        .size:           8
        .value_kind:     global_buffer
      - .offset:         16
        .size:           8
        .value_kind:     by_value
      - .address_space:  global
        .offset:         24
        .size:           8
        .value_kind:     global_buffer
      - .offset:         32
        .size:           8
        .value_kind:     by_value
      - .address_space:  global
        .offset:         40
        .size:           8
        .value_kind:     global_buffer
      - .offset:         48
        .size:           4
        .value_kind:     by_value
      - .offset:         52
        .size:           4
        .value_kind:     by_value
      - .offset:         56
        .size:           8
        .value_kind:     by_value
      - .address_space:  global
        .offset:         64
        .size:           8
        .value_kind:     global_buffer
      - .address_space:  global
        .offset:         72
        .size:           8
        .value_kind:     global_buffer
      - .offset:         80
        .size:           4
        .value_kind:     by_value
      - .offset:         88
        .size:           8
        .value_kind:     by_value
      - .offset:         96
        .size:           8
        .value_kind:     by_value
      - .offset:         104
        .size:           8
        .value_kind:     by_value
      - .offset:         112
        .size:           4
        .value_kind:     hidden_block_count_x
      - .offset:         116
        .size:           4
        .value_kind:     hidden_block_count_y
      - .offset:         120
        .size:           4
        .value_kind:     hidden_block_count_z
      - .offset:         124
        .size:           2
        .value_kind:     hidden_group_size_x
      - .offset:         126
        .size:           2
        .value_kind:     hidden_group_size_y
      - .offset:         128
        .size:           2
        .value_kind:     hidden_group_size_z
      - .offset:         130
        .size:           2
        .value_kind:     hidden_remainder_x
      - .offset:         132
        .size:           2
        .value_kind:     hidden_remainder_y
      - .offset:         134
        .size:           2
        .value_kind:     hidden_remainder_z
      - .offset:         152
        .size:           8
        .value_kind:     hidden_global_offset_x
      - .offset:         160
        .size:           8
        .value_kind:     hidden_global_offset_y
      - .offset:         168
        .size:           8
        .value_kind:     hidden_global_offset_z
      - .offset:         176
        .size:           2
        .value_kind:     hidden_grid_dims
    .group_segment_fixed_size: 16432
    .kernarg_segment_align: 8
    .kernarg_segment_size: 368
    .language:       OpenCL C
    .language_version:
      - 2
      - 0
    .max_flat_workgroup_size: 1024
    .name:           _ZN9rocsolver6v33100L12steqr_kernelI19rocblas_complex_numIdEdPS3_EEviPT0_lS6_lT1_iilPiS6_iS5_S5_S5_
    .private_segment_fixed_size: 0
    .sgpr_count:     100
    .sgpr_spill_count: 10
    .symbol:         _ZN9rocsolver6v33100L12steqr_kernelI19rocblas_complex_numIdEdPS3_EEviPT0_lS6_lT1_iilPiS6_iS5_S5_S5_.kd
    .uniform_work_group_size: 1
    .uses_dynamic_stack: false
    .vgpr_count:     71
    .vgpr_spill_count: 0
    .wavefront_size: 64
  - .agpr_count:     0
    .args:
      - .offset:         0
        .size:           4
        .value_kind:     by_value
      - .offset:         4
        .size:           4
        .value_kind:     by_value
      - .offset:         8
        .size:           4
        .value_kind:     by_value
      - .address_space:  global
        .offset:         16
        .size:           8
        .value_kind:     global_buffer
      - .offset:         24
        .size:           4
        .value_kind:     by_value
      - .offset:         28
        .size:           4
        .value_kind:     by_value
      - .offset:         32
        .size:           8
        .value_kind:     by_value
      - .address_space:  global
        .offset:         40
        .size:           8
        .value_kind:     global_buffer
      - .offset:         48
        .size:           4
        .value_kind:     by_value
      - .offset:         52
        .size:           4
        .value_kind:     by_value
      - .offset:         56
        .size:           4
        .value_kind:     hidden_block_count_x
      - .offset:         60
        .size:           4
        .value_kind:     hidden_block_count_y
      - .offset:         64
        .size:           4
        .value_kind:     hidden_block_count_z
      - .offset:         68
        .size:           2
        .value_kind:     hidden_group_size_x
      - .offset:         70
        .size:           2
        .value_kind:     hidden_group_size_y
      - .offset:         72
        .size:           2
        .value_kind:     hidden_group_size_z
      - .offset:         74
        .size:           2
        .value_kind:     hidden_remainder_x
      - .offset:         76
        .size:           2
        .value_kind:     hidden_remainder_y
      - .offset:         78
        .size:           2
        .value_kind:     hidden_remainder_z
      - .offset:         96
        .size:           8
        .value_kind:     hidden_global_offset_x
      - .offset:         104
        .size:           8
        .value_kind:     hidden_global_offset_y
      - .offset:         112
        .size:           8
        .value_kind:     hidden_global_offset_z
      - .offset:         120
        .size:           2
        .value_kind:     hidden_grid_dims
    .group_segment_fixed_size: 0
    .kernarg_segment_align: 8
    .kernarg_segment_size: 312
    .language:       OpenCL C
    .language_version:
      - 2
      - 0
    .max_flat_workgroup_size: 1024
    .name:           _ZN9rocsolver6v33100L8copy_matI19rocblas_complex_numIdEdLb0EPS3_TnNSt9enable_ifIX18rocblas_is_complexIT_EEiE4typeELi0EEEvNS0_17copymat_directionEiiT2_iilPT0_13rocblas_fill_17rocblas_diagonal_
    .private_segment_fixed_size: 0
    .sgpr_count:     28
    .sgpr_spill_count: 0
    .symbol:         _ZN9rocsolver6v33100L8copy_matI19rocblas_complex_numIdEdLb0EPS3_TnNSt9enable_ifIX18rocblas_is_complexIT_EEiE4typeELi0EEEvNS0_17copymat_directionEiiT2_iilPT0_13rocblas_fill_17rocblas_diagonal_.kd
    .uniform_work_group_size: 1
    .uses_dynamic_stack: false
    .vgpr_count:     8
    .vgpr_spill_count: 0
    .wavefront_size: 64
  - .agpr_count:     0
    .args:
      - .offset:         0
        .size:           4
        .value_kind:     by_value
      - .offset:         4
        .size:           4
        .value_kind:     by_value
      - .address_space:  global
        .offset:         8
        .size:           8
        .value_kind:     global_buffer
      - .offset:         16
        .size:           4
        .value_kind:     by_value
      - .offset:         20
        .size:           4
        .value_kind:     by_value
      - .offset:         24
        .size:           8
        .value_kind:     by_value
      - .offset:         32
        .size:           4
        .value_kind:     by_value
      - .offset:         40
        .size:           4
        .value_kind:     hidden_block_count_x
      - .offset:         44
        .size:           4
        .value_kind:     hidden_block_count_y
      - .offset:         48
        .size:           4
        .value_kind:     hidden_block_count_z
      - .offset:         52
        .size:           2
        .value_kind:     hidden_group_size_x
      - .offset:         54
        .size:           2
        .value_kind:     hidden_group_size_y
      - .offset:         56
        .size:           2
        .value_kind:     hidden_group_size_z
      - .offset:         58
        .size:           2
        .value_kind:     hidden_remainder_x
      - .offset:         60
        .size:           2
        .value_kind:     hidden_remainder_y
      - .offset:         62
        .size:           2
        .value_kind:     hidden_remainder_z
      - .offset:         80
        .size:           8
        .value_kind:     hidden_global_offset_x
      - .offset:         88
        .size:           8
        .value_kind:     hidden_global_offset_y
      - .offset:         96
        .size:           8
        .value_kind:     hidden_global_offset_z
      - .offset:         104
        .size:           2
        .value_kind:     hidden_grid_dims
    .group_segment_fixed_size: 0
    .kernarg_segment_align: 8
    .kernarg_segment_size: 296
    .language:       OpenCL C
    .language_version:
      - 2
      - 0
    .max_flat_workgroup_size: 1024
    .name:           _ZN9rocsolver6v33100L8set_zeroI19rocblas_complex_numIdEPS3_EEviiT0_iil13rocblas_fill_
    .private_segment_fixed_size: 0
    .sgpr_count:     13
    .sgpr_spill_count: 0
    .symbol:         _ZN9rocsolver6v33100L8set_zeroI19rocblas_complex_numIdEPS3_EEviiT0_iil13rocblas_fill_.kd
    .uniform_work_group_size: 1
    .uses_dynamic_stack: false
    .vgpr_count:     6
    .vgpr_spill_count: 0
    .wavefront_size: 64
  - .agpr_count:     0
    .args:
      - .offset:         0
        .size:           4
        .value_kind:     by_value
      - .offset:         4
        .size:           4
        .value_kind:     by_value
      - .offset:         8
        .size:           4
        .value_kind:     by_value
      - .address_space:  global
        .offset:         16
        .size:           8
        .value_kind:     global_buffer
      - .offset:         24
        .size:           4
        .value_kind:     by_value
      - .offset:         28
        .size:           4
        .value_kind:     by_value
      - .offset:         32
        .size:           8
        .value_kind:     by_value
      - .address_space:  global
        .offset:         40
        .size:           8
        .value_kind:     global_buffer
      - .offset:         48
        .size:           4
        .value_kind:     by_value
      - .offset:         52
        .size:           4
        .value_kind:     by_value
      - .offset:         56
        .size:           4
        .value_kind:     hidden_block_count_x
      - .offset:         60
        .size:           4
        .value_kind:     hidden_block_count_y
      - .offset:         64
        .size:           4
        .value_kind:     hidden_block_count_z
      - .offset:         68
        .size:           2
        .value_kind:     hidden_group_size_x
      - .offset:         70
        .size:           2
        .value_kind:     hidden_group_size_y
      - .offset:         72
        .size:           2
        .value_kind:     hidden_group_size_z
      - .offset:         74
        .size:           2
        .value_kind:     hidden_remainder_x
      - .offset:         76
        .size:           2
        .value_kind:     hidden_remainder_y
      - .offset:         78
        .size:           2
        .value_kind:     hidden_remainder_z
      - .offset:         96
        .size:           8
        .value_kind:     hidden_global_offset_x
      - .offset:         104
        .size:           8
        .value_kind:     hidden_global_offset_y
      - .offset:         112
        .size:           8
        .value_kind:     hidden_global_offset_z
      - .offset:         120
        .size:           2
        .value_kind:     hidden_grid_dims
    .group_segment_fixed_size: 0
    .kernarg_segment_align: 8
    .kernarg_segment_size: 312
    .language:       OpenCL C
    .language_version:
      - 2
      - 0
    .max_flat_workgroup_size: 1024
    .name:           _ZN9rocsolver6v33100L8copy_matI19rocblas_complex_numIdEdLb1EPS3_TnNSt9enable_ifIX18rocblas_is_complexIT_EEiE4typeELi0EEEvNS0_17copymat_directionEiiT2_iilPT0_13rocblas_fill_17rocblas_diagonal_
    .private_segment_fixed_size: 0
    .sgpr_count:     22
    .sgpr_spill_count: 0
    .symbol:         _ZN9rocsolver6v33100L8copy_matI19rocblas_complex_numIdEdLb1EPS3_TnNSt9enable_ifIX18rocblas_is_complexIT_EEiE4typeELi0EEEvNS0_17copymat_directionEiiT2_iilPT0_13rocblas_fill_17rocblas_diagonal_.kd
    .uniform_work_group_size: 1
    .uses_dynamic_stack: false
    .vgpr_count:     9
    .vgpr_spill_count: 0
    .wavefront_size: 64
  - .agpr_count:     0
    .args:
      - .offset:         0
        .size:           4
        .value_kind:     by_value
      - .address_space:  global
        .offset:         8
        .size:           8
        .value_kind:     global_buffer
      - .offset:         16
        .size:           4
        .value_kind:     by_value
      - .offset:         20
        .size:           4
        .value_kind:     by_value
      - .offset:         24
        .size:           8
        .value_kind:     by_value
      - .address_space:  global
        .offset:         32
        .size:           8
        .value_kind:     global_buffer
      - .offset:         40
        .size:           4
        .value_kind:     by_value
      - .offset:         44
        .size:           4
        .value_kind:     by_value
      - .offset:         48
        .size:           8
        .value_kind:     by_value
      - .offset:         56
        .size:           4
        .value_kind:     hidden_block_count_x
      - .offset:         60
        .size:           4
        .value_kind:     hidden_block_count_y
      - .offset:         64
        .size:           4
        .value_kind:     hidden_block_count_z
      - .offset:         68
        .size:           2
        .value_kind:     hidden_group_size_x
      - .offset:         70
        .size:           2
        .value_kind:     hidden_group_size_y
      - .offset:         72
        .size:           2
        .value_kind:     hidden_group_size_z
      - .offset:         74
        .size:           2
        .value_kind:     hidden_remainder_x
      - .offset:         76
        .size:           2
        .value_kind:     hidden_remainder_y
      - .offset:         78
        .size:           2
        .value_kind:     hidden_remainder_z
      - .offset:         96
        .size:           8
        .value_kind:     hidden_global_offset_x
      - .offset:         104
        .size:           8
        .value_kind:     hidden_global_offset_y
      - .offset:         112
        .size:           8
        .value_kind:     hidden_global_offset_z
      - .offset:         120
        .size:           2
        .value_kind:     hidden_grid_dims
    .group_segment_fixed_size: 0
    .kernarg_segment_align: 8
    .kernarg_segment_size: 312
    .language:       OpenCL C
    .language_version:
      - 2
      - 0
    .max_flat_workgroup_size: 512
    .name:           _ZN9rocsolver6v33100L11stedc_copyCI19rocblas_complex_numIdEPS3_S4_EEviT0_iilT1_iil
    .private_segment_fixed_size: 272
    .sgpr_count:     65
    .sgpr_spill_count: 0
    .symbol:         _ZN9rocsolver6v33100L11stedc_copyCI19rocblas_complex_numIdEPS3_S4_EEviT0_iilT1_iil.kd
    .uniform_work_group_size: 1
    .uses_dynamic_stack: false
    .vgpr_count:     54
    .vgpr_spill_count: 0
    .wavefront_size: 64
  - .agpr_count:     0
    .args:
      - .offset:         0
        .size:           4
        .value_kind:     by_value
      - .address_space:  global
        .offset:         8
        .size:           8
        .value_kind:     global_buffer
      - .offset:         16
        .size:           8
        .value_kind:     by_value
      - .address_space:  global
        .offset:         24
        .size:           8
        .value_kind:     global_buffer
      - .offset:         32
        .size:           8
        .value_kind:     by_value
      - .address_space:  global
        .offset:         40
        .size:           8
        .value_kind:     global_buffer
      - .offset:         48
        .size:           4
        .value_kind:     by_value
      - .offset:         52
        .size:           4
        .value_kind:     by_value
      - .offset:         56
        .size:           8
        .value_kind:     by_value
      - .address_space:  global
        .offset:         64
        .size:           8
        .value_kind:     global_buffer
      - .offset:         72
        .size:           4
        .value_kind:     by_value
      - .offset:         76
        .size:           4
        .value_kind:     by_value
      - .offset:         80
        .size:           8
        .value_kind:     by_value
      - .offset:         88
        .size:           4
        .value_kind:     hidden_block_count_x
      - .offset:         92
        .size:           4
        .value_kind:     hidden_block_count_y
      - .offset:         96
        .size:           4
        .value_kind:     hidden_block_count_z
      - .offset:         100
        .size:           2
        .value_kind:     hidden_group_size_x
      - .offset:         102
        .size:           2
        .value_kind:     hidden_group_size_y
      - .offset:         104
        .size:           2
        .value_kind:     hidden_group_size_z
      - .offset:         106
        .size:           2
        .value_kind:     hidden_remainder_x
      - .offset:         108
        .size:           2
        .value_kind:     hidden_remainder_y
      - .offset:         110
        .size:           2
        .value_kind:     hidden_remainder_z
      - .offset:         128
        .size:           8
        .value_kind:     hidden_global_offset_x
      - .offset:         136
        .size:           8
        .value_kind:     hidden_global_offset_y
      - .offset:         144
        .size:           8
        .value_kind:     hidden_global_offset_z
      - .offset:         152
        .size:           2
        .value_kind:     hidden_grid_dims
    .group_segment_fixed_size: 10240
    .kernarg_segment_align: 8
    .kernarg_segment_size: 344
    .language:       OpenCL C
    .language_version:
      - 2
      - 0
    .max_flat_workgroup_size: 512
    .name:           _ZN9rocsolver6v33100L10stedc_sortI19rocblas_complex_numIdEdPS3_S4_EEviPT0_lS6_lT1_iilT2_iil
    .private_segment_fixed_size: 128
    .sgpr_count:     83
    .sgpr_spill_count: 0
    .symbol:         _ZN9rocsolver6v33100L10stedc_sortI19rocblas_complex_numIdEdPS3_S4_EEviPT0_lS6_lT1_iilT2_iil.kd
    .uniform_work_group_size: 1
    .uses_dynamic_stack: false
    .vgpr_count:     70
    .vgpr_spill_count: 0
    .wavefront_size: 64
amdhsa.target:   amdgcn-amd-amdhsa--gfx90a
amdhsa.version:
  - 1
  - 2
...

	.end_amdgpu_metadata
